;; amdgpu-corpus repo=ROCm/rocSPARSE kind=compiled arch=gfx1250 opt=O3
	.amdgcn_target "amdgcn-amd-amdhsa--gfx1250"
	.amdhsa_code_object_version 6
	.section	.text._ZN9rocsparseL19csr_max_nnz_per_rowILj256EiiEEvT1_PKT0_PS1_,"axG",@progbits,_ZN9rocsparseL19csr_max_nnz_per_rowILj256EiiEEvT1_PKT0_PS1_,comdat
	.globl	_ZN9rocsparseL19csr_max_nnz_per_rowILj256EiiEEvT1_PKT0_PS1_ ; -- Begin function _ZN9rocsparseL19csr_max_nnz_per_rowILj256EiiEEvT1_PKT0_PS1_
	.p2align	8
	.type	_ZN9rocsparseL19csr_max_nnz_per_rowILj256EiiEEvT1_PKT0_PS1_,@function
_ZN9rocsparseL19csr_max_nnz_per_rowILj256EiiEEvT1_PKT0_PS1_: ; @_ZN9rocsparseL19csr_max_nnz_per_rowILj256EiiEEvT1_PKT0_PS1_
; %bb.0:
	s_load_b32 s2, s[0:1], 0x0
	s_bfe_u32 s3, ttmp6, 0x4000c
	s_and_b32 s4, ttmp6, 15
	s_add_co_i32 s3, s3, 1
	s_getreg_b32 s5, hwreg(HW_REG_IB_STS2, 6, 4)
	s_mul_i32 s3, ttmp9, s3
	v_mov_b32_e32 v3, 0
	s_add_co_i32 s4, s4, s3
	s_cmp_eq_u32 s5, 0
	s_cselect_b32 s3, ttmp9, s4
	s_delay_alu instid0(SALU_CYCLE_1) | instskip(SKIP_1) | instid1(VALU_DEP_1)
	v_lshl_or_b32 v2, s3, 8, v0
	s_wait_kmcnt 0x0
	v_cmp_gt_i32_e32 vcc_lo, s2, v2
	s_and_saveexec_b32 s2, vcc_lo
	s_cbranch_execz .LBB0_2
; %bb.1:
	s_load_b64 s[4:5], s[0:1], 0x8
	v_ashrrev_i32_e32 v3, 31, v2
	s_wait_kmcnt 0x0
	s_delay_alu instid0(VALU_DEP_1)
	v_lshl_add_u64 v[2:3], v[2:3], 2, s[4:5]
	global_load_b64 v[2:3], v[2:3], off
	s_wait_loadcnt 0x0
	v_sub_nc_u32_e32 v3, v3, v2
.LBB0_2:
	s_or_b32 exec_lo, exec_lo, s2
	v_lshlrev_b32_e32 v1, 2, v0
	s_mov_b32 s2, exec_lo
	ds_store_b32 v1, v3
	s_wait_dscnt 0x0
	s_barrier_signal -1
	s_barrier_wait -1
	v_cmpx_gt_u32_e32 0x80, v0
	s_cbranch_execz .LBB0_4
; %bb.3:
	ds_load_2addr_stride64_b32 v[2:3], v1 offset1:2
	s_wait_dscnt 0x0
	v_max_i32_e32 v2, v2, v3
	ds_store_b32 v1, v2
.LBB0_4:
	s_or_b32 exec_lo, exec_lo, s2
	s_delay_alu instid0(SALU_CYCLE_1)
	s_mov_b32 s2, exec_lo
	s_wait_dscnt 0x0
	s_barrier_signal -1
	s_barrier_wait -1
	v_cmpx_gt_u32_e32 64, v0
	s_cbranch_execz .LBB0_6
; %bb.5:
	ds_load_2addr_stride64_b32 v[2:3], v1 offset1:1
	s_wait_dscnt 0x0
	v_max_i32_e32 v2, v2, v3
	ds_store_b32 v1, v2
.LBB0_6:
	s_or_b32 exec_lo, exec_lo, s2
	s_delay_alu instid0(SALU_CYCLE_1)
	s_mov_b32 s2, exec_lo
	s_wait_dscnt 0x0
	s_barrier_signal -1
	s_barrier_wait -1
	v_cmpx_gt_u32_e32 32, v0
	s_cbranch_execz .LBB0_8
; %bb.7:
	ds_load_2addr_b32 v[2:3], v1 offset1:32
	s_wait_dscnt 0x0
	v_max_i32_e32 v2, v2, v3
	ds_store_b32 v1, v2
.LBB0_8:
	s_or_b32 exec_lo, exec_lo, s2
	s_delay_alu instid0(SALU_CYCLE_1)
	s_mov_b32 s2, exec_lo
	s_wait_dscnt 0x0
	s_barrier_signal -1
	s_barrier_wait -1
	v_cmpx_gt_u32_e32 16, v0
	s_cbranch_execz .LBB0_10
; %bb.9:
	ds_load_2addr_b32 v[2:3], v1 offset1:16
	s_wait_dscnt 0x0
	v_max_i32_e32 v2, v2, v3
	ds_store_b32 v1, v2
.LBB0_10:
	;; [unrolled: 14-line block ×5, first 2 shown]
	s_or_b32 exec_lo, exec_lo, s2
	v_cmp_eq_u32_e32 vcc_lo, 0, v0
	s_wait_dscnt 0x0
	s_barrier_signal -1
	s_barrier_wait -1
	s_and_saveexec_b32 s2, vcc_lo
	s_cbranch_execz .LBB0_18
; %bb.17:
	v_mov_b32_e32 v2, 0
	ds_load_b64 v[0:1], v2
	s_wait_dscnt 0x0
	v_max_i32_e32 v0, v0, v1
	ds_store_b32 v2, v0
.LBB0_18:
	s_or_b32 exec_lo, exec_lo, s2
	s_wait_dscnt 0x0
	s_barrier_signal -1
	s_barrier_wait -1
	s_and_saveexec_b32 s2, vcc_lo
	s_cbranch_execz .LBB0_21
; %bb.19:
	v_mbcnt_lo_u32_b32 v0, exec_lo, 0
	s_delay_alu instid0(VALU_DEP_1)
	v_cmp_eq_u32_e32 vcc_lo, 0, v0
	s_and_b32 exec_lo, exec_lo, vcc_lo
	s_cbranch_execz .LBB0_21
; %bb.20:
	v_mov_b32_e32 v0, 0
	s_load_b64 s[0:1], s[0:1], 0x10
	ds_load_b32 v1, v0
	s_wait_xcnt 0x0
	s_wait_dscnt 0x0
	s_wait_kmcnt 0x0
	global_atomic_max_i32 v0, v1, s[0:1] scope:SCOPE_DEV
.LBB0_21:
	s_endpgm
	.section	.rodata,"a",@progbits
	.p2align	6, 0x0
	.amdhsa_kernel _ZN9rocsparseL19csr_max_nnz_per_rowILj256EiiEEvT1_PKT0_PS1_
		.amdhsa_group_segment_fixed_size 1024
		.amdhsa_private_segment_fixed_size 0
		.amdhsa_kernarg_size 24
		.amdhsa_user_sgpr_count 2
		.amdhsa_user_sgpr_dispatch_ptr 0
		.amdhsa_user_sgpr_queue_ptr 0
		.amdhsa_user_sgpr_kernarg_segment_ptr 1
		.amdhsa_user_sgpr_dispatch_id 0
		.amdhsa_user_sgpr_kernarg_preload_length 0
		.amdhsa_user_sgpr_kernarg_preload_offset 0
		.amdhsa_user_sgpr_private_segment_size 0
		.amdhsa_wavefront_size32 1
		.amdhsa_uses_dynamic_stack 0
		.amdhsa_enable_private_segment 0
		.amdhsa_system_sgpr_workgroup_id_x 1
		.amdhsa_system_sgpr_workgroup_id_y 0
		.amdhsa_system_sgpr_workgroup_id_z 0
		.amdhsa_system_sgpr_workgroup_info 0
		.amdhsa_system_vgpr_workitem_id 0
		.amdhsa_next_free_vgpr 4
		.amdhsa_next_free_sgpr 6
		.amdhsa_named_barrier_count 0
		.amdhsa_reserve_vcc 1
		.amdhsa_float_round_mode_32 0
		.amdhsa_float_round_mode_16_64 0
		.amdhsa_float_denorm_mode_32 3
		.amdhsa_float_denorm_mode_16_64 3
		.amdhsa_fp16_overflow 0
		.amdhsa_memory_ordered 1
		.amdhsa_forward_progress 1
		.amdhsa_inst_pref_size 6
		.amdhsa_round_robin_scheduling 0
		.amdhsa_exception_fp_ieee_invalid_op 0
		.amdhsa_exception_fp_denorm_src 0
		.amdhsa_exception_fp_ieee_div_zero 0
		.amdhsa_exception_fp_ieee_overflow 0
		.amdhsa_exception_fp_ieee_underflow 0
		.amdhsa_exception_fp_ieee_inexact 0
		.amdhsa_exception_int_div_zero 0
	.end_amdhsa_kernel
	.section	.text._ZN9rocsparseL19csr_max_nnz_per_rowILj256EiiEEvT1_PKT0_PS1_,"axG",@progbits,_ZN9rocsparseL19csr_max_nnz_per_rowILj256EiiEEvT1_PKT0_PS1_,comdat
.Lfunc_end0:
	.size	_ZN9rocsparseL19csr_max_nnz_per_rowILj256EiiEEvT1_PKT0_PS1_, .Lfunc_end0-_ZN9rocsparseL19csr_max_nnz_per_rowILj256EiiEEvT1_PKT0_PS1_
                                        ; -- End function
	.set _ZN9rocsparseL19csr_max_nnz_per_rowILj256EiiEEvT1_PKT0_PS1_.num_vgpr, 4
	.set _ZN9rocsparseL19csr_max_nnz_per_rowILj256EiiEEvT1_PKT0_PS1_.num_agpr, 0
	.set _ZN9rocsparseL19csr_max_nnz_per_rowILj256EiiEEvT1_PKT0_PS1_.numbered_sgpr, 6
	.set _ZN9rocsparseL19csr_max_nnz_per_rowILj256EiiEEvT1_PKT0_PS1_.num_named_barrier, 0
	.set _ZN9rocsparseL19csr_max_nnz_per_rowILj256EiiEEvT1_PKT0_PS1_.private_seg_size, 0
	.set _ZN9rocsparseL19csr_max_nnz_per_rowILj256EiiEEvT1_PKT0_PS1_.uses_vcc, 1
	.set _ZN9rocsparseL19csr_max_nnz_per_rowILj256EiiEEvT1_PKT0_PS1_.uses_flat_scratch, 0
	.set _ZN9rocsparseL19csr_max_nnz_per_rowILj256EiiEEvT1_PKT0_PS1_.has_dyn_sized_stack, 0
	.set _ZN9rocsparseL19csr_max_nnz_per_rowILj256EiiEEvT1_PKT0_PS1_.has_recursion, 0
	.set _ZN9rocsparseL19csr_max_nnz_per_rowILj256EiiEEvT1_PKT0_PS1_.has_indirect_call, 0
	.section	.AMDGPU.csdata,"",@progbits
; Kernel info:
; codeLenInByte = 680
; TotalNumSgprs: 8
; NumVgprs: 4
; ScratchSize: 0
; MemoryBound: 0
; FloatMode: 240
; IeeeMode: 1
; LDSByteSize: 1024 bytes/workgroup (compile time only)
; SGPRBlocks: 0
; VGPRBlocks: 0
; NumSGPRsForWavesPerEU: 8
; NumVGPRsForWavesPerEU: 4
; NamedBarCnt: 0
; Occupancy: 16
; WaveLimiterHint : 0
; COMPUTE_PGM_RSRC2:SCRATCH_EN: 0
; COMPUTE_PGM_RSRC2:USER_SGPR: 2
; COMPUTE_PGM_RSRC2:TRAP_HANDLER: 0
; COMPUTE_PGM_RSRC2:TGID_X_EN: 1
; COMPUTE_PGM_RSRC2:TGID_Y_EN: 0
; COMPUTE_PGM_RSRC2:TGID_Z_EN: 0
; COMPUTE_PGM_RSRC2:TIDIG_COMP_CNT: 0
	.section	.text._ZN9rocsparseL19csr_max_nnz_per_rowILj256EllEEvT1_PKT0_PS1_,"axG",@progbits,_ZN9rocsparseL19csr_max_nnz_per_rowILj256EllEEvT1_PKT0_PS1_,comdat
	.globl	_ZN9rocsparseL19csr_max_nnz_per_rowILj256EllEEvT1_PKT0_PS1_ ; -- Begin function _ZN9rocsparseL19csr_max_nnz_per_rowILj256EllEEvT1_PKT0_PS1_
	.p2align	8
	.type	_ZN9rocsparseL19csr_max_nnz_per_rowILj256EllEEvT1_PKT0_PS1_,@function
_ZN9rocsparseL19csr_max_nnz_per_rowILj256EllEEvT1_PKT0_PS1_: ; @_ZN9rocsparseL19csr_max_nnz_per_rowILj256EllEEvT1_PKT0_PS1_
; %bb.0:
	s_load_b64 s[2:3], s[0:1], 0x0
	s_bfe_u32 s4, ttmp6, 0x4000c
	s_and_b32 s5, ttmp6, 15
	s_add_co_i32 s4, s4, 1
	s_getreg_b32 s6, hwreg(HW_REG_IB_STS2, 6, 4)
	s_mul_i32 s4, ttmp9, s4
	v_mov_b32_e32 v5, 0
	s_add_co_i32 s5, s5, s4
	s_cmp_eq_u32 s6, 0
	v_mov_b64_e32 v[2:3], 0
	s_cselect_b32 s4, ttmp9, s5
	s_delay_alu instid0(SALU_CYCLE_1) | instskip(SKIP_1) | instid1(VALU_DEP_1)
	v_lshl_or_b32 v4, s4, 8, v0
	s_wait_kmcnt 0x0
	v_cmp_gt_i64_e32 vcc_lo, s[2:3], v[4:5]
	s_and_saveexec_b32 s2, vcc_lo
	s_cbranch_execz .LBB1_2
; %bb.1:
	s_load_b64 s[4:5], s[0:1], 0x8
	s_wait_kmcnt 0x0
	v_lshl_add_u64 v[2:3], v[4:5], 3, s[4:5]
	global_load_b128 v[2:5], v[2:3], off
	s_wait_loadcnt 0x0
	v_sub_nc_u64_e32 v[2:3], v[4:5], v[2:3]
.LBB1_2:
	s_or_b32 exec_lo, exec_lo, s2
	v_lshlrev_b32_e32 v1, 3, v0
	s_mov_b32 s2, exec_lo
	ds_store_b64 v1, v[2:3]
	s_wait_dscnt 0x0
	s_barrier_signal -1
	s_barrier_wait -1
	v_cmpx_gt_u32_e32 0x80, v0
	s_cbranch_execz .LBB1_4
; %bb.3:
	ds_load_2addr_stride64_b64 v[2:5], v1 offset1:2
	s_wait_dscnt 0x0
	v_max_i64 v[2:3], v[2:3], v[4:5]
	ds_store_b64 v1, v[2:3]
.LBB1_4:
	s_or_b32 exec_lo, exec_lo, s2
	s_delay_alu instid0(SALU_CYCLE_1)
	s_mov_b32 s2, exec_lo
	s_wait_dscnt 0x0
	s_barrier_signal -1
	s_barrier_wait -1
	v_cmpx_gt_u32_e32 64, v0
	s_cbranch_execz .LBB1_6
; %bb.5:
	ds_load_2addr_stride64_b64 v[2:5], v1 offset1:1
	s_wait_dscnt 0x0
	v_max_i64 v[2:3], v[2:3], v[4:5]
	ds_store_b64 v1, v[2:3]
.LBB1_6:
	s_or_b32 exec_lo, exec_lo, s2
	s_delay_alu instid0(SALU_CYCLE_1)
	s_mov_b32 s2, exec_lo
	s_wait_dscnt 0x0
	s_barrier_signal -1
	s_barrier_wait -1
	v_cmpx_gt_u32_e32 32, v0
	s_cbranch_execz .LBB1_8
; %bb.7:
	ds_load_2addr_b64 v[2:5], v1 offset1:32
	s_wait_dscnt 0x0
	v_max_i64 v[2:3], v[2:3], v[4:5]
	ds_store_b64 v1, v[2:3]
.LBB1_8:
	s_or_b32 exec_lo, exec_lo, s2
	s_delay_alu instid0(SALU_CYCLE_1)
	s_mov_b32 s2, exec_lo
	s_wait_dscnt 0x0
	s_barrier_signal -1
	s_barrier_wait -1
	v_cmpx_gt_u32_e32 16, v0
	s_cbranch_execz .LBB1_10
; %bb.9:
	ds_load_2addr_b64 v[2:5], v1 offset1:16
	s_wait_dscnt 0x0
	v_max_i64 v[2:3], v[2:3], v[4:5]
	ds_store_b64 v1, v[2:3]
.LBB1_10:
	;; [unrolled: 14-line block ×5, first 2 shown]
	s_or_b32 exec_lo, exec_lo, s2
	v_cmp_eq_u32_e32 vcc_lo, 0, v0
	s_wait_dscnt 0x0
	s_barrier_signal -1
	s_barrier_wait -1
	s_and_saveexec_b32 s2, vcc_lo
	s_cbranch_execz .LBB1_18
; %bb.17:
	v_mov_b32_e32 v4, 0
	ds_load_b128 v[0:3], v4
	s_wait_dscnt 0x0
	v_max_i64 v[0:1], v[0:1], v[2:3]
	ds_store_b64 v4, v[0:1]
.LBB1_18:
	s_or_b32 exec_lo, exec_lo, s2
	s_wait_dscnt 0x0
	s_barrier_signal -1
	s_barrier_wait -1
	s_and_saveexec_b32 s2, vcc_lo
	s_cbranch_execz .LBB1_21
; %bb.19:
	v_mbcnt_lo_u32_b32 v0, exec_lo, 0
	s_delay_alu instid0(VALU_DEP_1)
	v_cmp_eq_u32_e32 vcc_lo, 0, v0
	s_and_b32 exec_lo, exec_lo, vcc_lo
	s_cbranch_execz .LBB1_21
; %bb.20:
	v_mov_b32_e32 v2, 0
	s_load_b64 s[0:1], s[0:1], 0x10
	ds_load_b64 v[0:1], v2
	s_wait_xcnt 0x0
	s_wait_dscnt 0x0
	s_wait_kmcnt 0x0
	global_atomic_max_u64 v2, v[0:1], s[0:1] scope:SCOPE_DEV
.LBB1_21:
	s_endpgm
	.section	.rodata,"a",@progbits
	.p2align	6, 0x0
	.amdhsa_kernel _ZN9rocsparseL19csr_max_nnz_per_rowILj256EllEEvT1_PKT0_PS1_
		.amdhsa_group_segment_fixed_size 2048
		.amdhsa_private_segment_fixed_size 0
		.amdhsa_kernarg_size 24
		.amdhsa_user_sgpr_count 2
		.amdhsa_user_sgpr_dispatch_ptr 0
		.amdhsa_user_sgpr_queue_ptr 0
		.amdhsa_user_sgpr_kernarg_segment_ptr 1
		.amdhsa_user_sgpr_dispatch_id 0
		.amdhsa_user_sgpr_kernarg_preload_length 0
		.amdhsa_user_sgpr_kernarg_preload_offset 0
		.amdhsa_user_sgpr_private_segment_size 0
		.amdhsa_wavefront_size32 1
		.amdhsa_uses_dynamic_stack 0
		.amdhsa_enable_private_segment 0
		.amdhsa_system_sgpr_workgroup_id_x 1
		.amdhsa_system_sgpr_workgroup_id_y 0
		.amdhsa_system_sgpr_workgroup_id_z 0
		.amdhsa_system_sgpr_workgroup_info 0
		.amdhsa_system_vgpr_workitem_id 0
		.amdhsa_next_free_vgpr 6
		.amdhsa_next_free_sgpr 7
		.amdhsa_named_barrier_count 0
		.amdhsa_reserve_vcc 1
		.amdhsa_float_round_mode_32 0
		.amdhsa_float_round_mode_16_64 0
		.amdhsa_float_denorm_mode_32 3
		.amdhsa_float_denorm_mode_16_64 3
		.amdhsa_fp16_overflow 0
		.amdhsa_memory_ordered 1
		.amdhsa_forward_progress 1
		.amdhsa_inst_pref_size 6
		.amdhsa_round_robin_scheduling 0
		.amdhsa_exception_fp_ieee_invalid_op 0
		.amdhsa_exception_fp_denorm_src 0
		.amdhsa_exception_fp_ieee_div_zero 0
		.amdhsa_exception_fp_ieee_overflow 0
		.amdhsa_exception_fp_ieee_underflow 0
		.amdhsa_exception_fp_ieee_inexact 0
		.amdhsa_exception_int_div_zero 0
	.end_amdhsa_kernel
	.section	.text._ZN9rocsparseL19csr_max_nnz_per_rowILj256EllEEvT1_PKT0_PS1_,"axG",@progbits,_ZN9rocsparseL19csr_max_nnz_per_rowILj256EllEEvT1_PKT0_PS1_,comdat
.Lfunc_end1:
	.size	_ZN9rocsparseL19csr_max_nnz_per_rowILj256EllEEvT1_PKT0_PS1_, .Lfunc_end1-_ZN9rocsparseL19csr_max_nnz_per_rowILj256EllEEvT1_PKT0_PS1_
                                        ; -- End function
	.set _ZN9rocsparseL19csr_max_nnz_per_rowILj256EllEEvT1_PKT0_PS1_.num_vgpr, 6
	.set _ZN9rocsparseL19csr_max_nnz_per_rowILj256EllEEvT1_PKT0_PS1_.num_agpr, 0
	.set _ZN9rocsparseL19csr_max_nnz_per_rowILj256EllEEvT1_PKT0_PS1_.numbered_sgpr, 7
	.set _ZN9rocsparseL19csr_max_nnz_per_rowILj256EllEEvT1_PKT0_PS1_.num_named_barrier, 0
	.set _ZN9rocsparseL19csr_max_nnz_per_rowILj256EllEEvT1_PKT0_PS1_.private_seg_size, 0
	.set _ZN9rocsparseL19csr_max_nnz_per_rowILj256EllEEvT1_PKT0_PS1_.uses_vcc, 1
	.set _ZN9rocsparseL19csr_max_nnz_per_rowILj256EllEEvT1_PKT0_PS1_.uses_flat_scratch, 0
	.set _ZN9rocsparseL19csr_max_nnz_per_rowILj256EllEEvT1_PKT0_PS1_.has_dyn_sized_stack, 0
	.set _ZN9rocsparseL19csr_max_nnz_per_rowILj256EllEEvT1_PKT0_PS1_.has_recursion, 0
	.set _ZN9rocsparseL19csr_max_nnz_per_rowILj256EllEEvT1_PKT0_PS1_.has_indirect_call, 0
	.section	.AMDGPU.csdata,"",@progbits
; Kernel info:
; codeLenInByte = 708
; TotalNumSgprs: 9
; NumVgprs: 6
; ScratchSize: 0
; MemoryBound: 1
; FloatMode: 240
; IeeeMode: 1
; LDSByteSize: 2048 bytes/workgroup (compile time only)
; SGPRBlocks: 0
; VGPRBlocks: 0
; NumSGPRsForWavesPerEU: 9
; NumVGPRsForWavesPerEU: 6
; NamedBarCnt: 0
; Occupancy: 16
; WaveLimiterHint : 0
; COMPUTE_PGM_RSRC2:SCRATCH_EN: 0
; COMPUTE_PGM_RSRC2:USER_SGPR: 2
; COMPUTE_PGM_RSRC2:TRAP_HANDLER: 0
; COMPUTE_PGM_RSRC2:TGID_X_EN: 1
; COMPUTE_PGM_RSRC2:TGID_Y_EN: 0
; COMPUTE_PGM_RSRC2:TGID_Z_EN: 0
; COMPUTE_PGM_RSRC2:TIDIG_COMP_CNT: 0
	.section	.text._ZN9rocsparseL22coomvn_segmented_loopsILj256EiffffEEvlT0_NS_24const_host_device_scalarIT4_EEPKS1_S6_PKT1_PKT2_PT3_PS1_PS3_21rocsparse_index_base_b,"axG",@progbits,_ZN9rocsparseL22coomvn_segmented_loopsILj256EiffffEEvlT0_NS_24const_host_device_scalarIT4_EEPKS1_S6_PKT1_PKT2_PT3_PS1_PS3_21rocsparse_index_base_b,comdat
	.globl	_ZN9rocsparseL22coomvn_segmented_loopsILj256EiffffEEvlT0_NS_24const_host_device_scalarIT4_EEPKS1_S6_PKT1_PKT2_PT3_PS1_PS3_21rocsparse_index_base_b ; -- Begin function _ZN9rocsparseL22coomvn_segmented_loopsILj256EiffffEEvlT0_NS_24const_host_device_scalarIT4_EEPKS1_S6_PKT1_PKT2_PT3_PS1_PS3_21rocsparse_index_base_b
	.p2align	8
	.type	_ZN9rocsparseL22coomvn_segmented_loopsILj256EiffffEEvlT0_NS_24const_host_device_scalarIT4_EEPKS1_S6_PKT1_PKT2_PT3_PS1_PS3_21rocsparse_index_base_b,@function
_ZN9rocsparseL22coomvn_segmented_loopsILj256EiffffEEvlT0_NS_24const_host_device_scalarIT4_EEPKS1_S6_PKT1_PKT2_PT3_PS1_PS3_21rocsparse_index_base_b: ; @_ZN9rocsparseL22coomvn_segmented_loopsILj256EiffffEEvlT0_NS_24const_host_device_scalarIT4_EEPKS1_S6_PKT1_PKT2_PT3_PS1_PS3_21rocsparse_index_base_b
; %bb.0:
	s_clause 0x1
	s_load_b64 s[30:31], s[0:1], 0x50
	s_load_b64 s[28:29], s[0:1], 0x10
	s_wait_kmcnt 0x0
	s_bitcmp1_b32 s31, 0
	s_cselect_b32 s2, -1, 0
	s_delay_alu instid0(SALU_CYCLE_1)
	s_and_b32 vcc_lo, exec_lo, s2
	s_cbranch_vccnz .LBB2_2
; %bb.1:
	s_load_b32 s28, s[28:29], 0x0
.LBB2_2:
	s_wait_kmcnt 0x0
	s_cmp_eq_f32 s28, 0
	s_cbranch_scc1 .LBB2_89
; %bb.3:
	s_clause 0x1
	s_load_b96 s[24:26], s[0:1], 0x0
	s_load_b256 s[16:23], s[0:1], 0x18
	s_bfe_u32 s2, ttmp6, 0x4000c
	s_and_b32 s3, ttmp6, 15
	s_add_co_i32 s2, s2, 1
	s_getreg_b32 s4, hwreg(HW_REG_IB_STS2, 6, 4)
	s_mul_i32 s2, ttmp9, s2
	v_dual_mov_b32 v3, 0 :: v_dual_mov_b32 v12, -1
	s_add_co_i32 s3, s3, s2
	s_cmp_eq_u32 s4, 0
	s_cselect_b32 s27, ttmp9, s3
	s_delay_alu instid0(VALU_DEP_1) | instskip(SKIP_2) | instid1(SALU_CYCLE_1)
	v_mov_b32_e32 v13, v3
	s_wait_kmcnt 0x0
	s_mul_i32 s2, s27, s26
	v_lshl_or_b32 v2, s2, 8, v0
	s_mov_b32 s2, exec_lo
	s_delay_alu instid0(VALU_DEP_1)
	v_cmpx_gt_i64_e64 s[24:25], v[2:3]
	s_cbranch_execz .LBB2_5
; %bb.4:
	v_lshlrev_b64_e32 v[4:5], 2, v[2:3]
	s_ashr_i32 s31, s30, 31
	s_delay_alu instid0(SALU_CYCLE_1) | instskip(NEXT) | instid1(VALU_DEP_1)
	s_lshl_b64 s[4:5], s[30:31], 2
	v_add_nc_u64_e32 v[6:7], s[18:19], v[4:5]
	v_add_nc_u64_e32 v[8:9], s[16:17], v[4:5]
	;; [unrolled: 1-line block ×3, first 2 shown]
	global_load_b32 v6, v[6:7], off th:TH_LOAD_NT
	s_wait_loadcnt 0x0
	v_ashrrev_i32_e32 v7, 31, v6
	s_delay_alu instid0(VALU_DEP_1) | instskip(NEXT) | instid1(VALU_DEP_1)
	v_lshl_add_u64 v[6:7], v[6:7], 2, s[22:23]
	v_sub_nc_u64_e64 v[6:7], v[6:7], s[4:5]
	global_load_b32 v1, v[8:9], off th:TH_LOAD_NT
	global_load_b32 v10, v[4:5], off th:TH_LOAD_NT
	global_load_b32 v11, v[6:7], off
	s_wait_loadcnt 0x2
	v_subrev_nc_u32_e32 v12, s30, v1
	s_wait_loadcnt 0x0
	v_mul_f32_e32 v13, v10, v11
.LBB2_5:
	s_or_b32 exec_lo, exec_lo, s2
	v_lshlrev_b32_e32 v1, 2, v0
	v_cmp_eq_u32_e64 s2, 0, v0
	v_cmp_ne_u32_e64 s3, 0, v0
	s_delay_alu instid0(VALU_DEP_3)
	v_or_b32_e32 v10, 0x400, v1
	v_add_nc_u32_e32 v11, -4, v1
	ds_store_2addr_stride64_b32 v1, v12, v13 offset1:4
	s_wait_dscnt 0x0
	s_barrier_signal -1
	s_barrier_wait -1
	s_and_saveexec_b32 s4, s3
	s_cbranch_execz .LBB2_9
; %bb.6:
	ds_load_b32 v4, v11
	s_mov_b32 s5, exec_lo
	s_wait_dscnt 0x0
	v_cmpx_eq_u32_e64 v12, v4
	s_cbranch_execz .LBB2_8
; %bb.7:
	v_add_nc_u32_e32 v4, -4, v10
	ds_load_b32 v4, v4
	s_wait_dscnt 0x0
	v_add_f32_e32 v13, v13, v4
.LBB2_8:
	s_or_b32 exec_lo, exec_lo, s5
.LBB2_9:
	s_delay_alu instid0(SALU_CYCLE_1)
	s_or_b32 exec_lo, exec_lo, s4
	v_cmp_lt_u32_e64 s4, 1, v0
	v_add_nc_u32_e32 v14, -8, v1
	s_barrier_signal -1
	s_barrier_wait -1
	ds_store_b32 v10, v13
	s_wait_dscnt 0x0
	s_barrier_signal -1
	s_barrier_wait -1
	s_and_saveexec_b32 s5, s4
	s_cbranch_execz .LBB2_13
; %bb.10:
	ds_load_b32 v4, v14
	s_mov_b32 s6, exec_lo
	s_wait_dscnt 0x0
	v_cmpx_eq_u32_e64 v12, v4
	s_cbranch_execz .LBB2_12
; %bb.11:
	v_add_nc_u32_e32 v4, -8, v10
	ds_load_b32 v4, v4
	s_wait_dscnt 0x0
	v_add_f32_e32 v13, v13, v4
.LBB2_12:
	s_or_b32 exec_lo, exec_lo, s6
.LBB2_13:
	s_delay_alu instid0(SALU_CYCLE_1)
	s_or_b32 exec_lo, exec_lo, s5
	v_cmp_lt_u32_e64 s5, 3, v0
	v_add_nc_u32_e32 v15, -16, v1
	s_barrier_signal -1
	s_barrier_wait -1
	ds_store_b32 v10, v13
	s_wait_dscnt 0x0
	s_barrier_signal -1
	s_barrier_wait -1
	s_and_saveexec_b32 s6, s5
	s_cbranch_execz .LBB2_17
; %bb.14:
	ds_load_b32 v4, v15
	s_mov_b32 s7, exec_lo
	s_wait_dscnt 0x0
	v_cmpx_eq_u32_e64 v12, v4
	s_cbranch_execz .LBB2_16
; %bb.15:
	v_add_nc_u32_e32 v4, -16, v10
	ds_load_b32 v4, v4
	s_wait_dscnt 0x0
	v_add_f32_e32 v13, v13, v4
.LBB2_16:
	s_or_b32 exec_lo, exec_lo, s7
.LBB2_17:
	s_delay_alu instid0(SALU_CYCLE_1)
	s_or_b32 exec_lo, exec_lo, s6
	v_cmp_lt_u32_e64 s6, 7, v0
	v_subrev_nc_u32_e32 v16, 32, v1
	s_barrier_signal -1
	s_barrier_wait -1
	ds_store_b32 v10, v13
	s_wait_dscnt 0x0
	s_barrier_signal -1
	s_barrier_wait -1
	s_and_saveexec_b32 s7, s6
	s_cbranch_execz .LBB2_21
; %bb.18:
	ds_load_b32 v4, v16
	s_mov_b32 s8, exec_lo
	s_wait_dscnt 0x0
	v_cmpx_eq_u32_e64 v12, v4
	s_cbranch_execz .LBB2_20
; %bb.19:
	v_subrev_nc_u32_e32 v4, 32, v10
	ds_load_b32 v4, v4
	s_wait_dscnt 0x0
	v_add_f32_e32 v13, v13, v4
.LBB2_20:
	s_or_b32 exec_lo, exec_lo, s8
.LBB2_21:
	s_delay_alu instid0(SALU_CYCLE_1)
	s_or_b32 exec_lo, exec_lo, s7
	v_cmp_lt_u32_e64 s7, 15, v0
	v_subrev_nc_u32_e32 v17, 64, v1
	s_barrier_signal -1
	s_barrier_wait -1
	ds_store_b32 v10, v13
	s_wait_dscnt 0x0
	s_barrier_signal -1
	s_barrier_wait -1
	s_and_saveexec_b32 s8, s7
	s_cbranch_execz .LBB2_25
; %bb.22:
	ds_load_b32 v4, v17
	s_mov_b32 s9, exec_lo
	s_wait_dscnt 0x0
	v_cmpx_eq_u32_e64 v12, v4
	s_cbranch_execz .LBB2_24
; %bb.23:
	v_subrev_nc_u32_e32 v4, 64, v10
	ds_load_b32 v4, v4
	s_wait_dscnt 0x0
	v_add_f32_e32 v13, v13, v4
.LBB2_24:
	s_or_b32 exec_lo, exec_lo, s9
.LBB2_25:
	s_delay_alu instid0(SALU_CYCLE_1)
	s_or_b32 exec_lo, exec_lo, s8
	v_cmp_lt_u32_e64 s8, 31, v0
	v_add_nc_u32_e32 v18, 0xffffff80, v1
	s_barrier_signal -1
	s_barrier_wait -1
	ds_store_b32 v10, v13
	s_wait_dscnt 0x0
	s_barrier_signal -1
	s_barrier_wait -1
	s_and_saveexec_b32 s9, s8
	s_cbranch_execz .LBB2_29
; %bb.26:
	ds_load_b32 v4, v18
	s_mov_b32 s10, exec_lo
	s_wait_dscnt 0x0
	v_cmpx_eq_u32_e64 v12, v4
	s_cbranch_execz .LBB2_28
; %bb.27:
	v_add_nc_u32_e32 v4, 0xffffff80, v10
	ds_load_b32 v4, v4
	s_wait_dscnt 0x0
	v_add_f32_e32 v13, v13, v4
.LBB2_28:
	s_or_b32 exec_lo, exec_lo, s10
.LBB2_29:
	s_delay_alu instid0(SALU_CYCLE_1)
	s_or_b32 exec_lo, exec_lo, s9
	v_cmp_lt_u32_e64 s9, 63, v0
	v_add_nc_u32_e32 v19, 0xffffff00, v1
	s_barrier_signal -1
	s_barrier_wait -1
	ds_store_b32 v10, v13
	s_wait_dscnt 0x0
	s_barrier_signal -1
	s_barrier_wait -1
	s_and_saveexec_b32 s10, s9
	s_cbranch_execz .LBB2_33
; %bb.30:
	ds_load_b32 v4, v19
	s_mov_b32 s11, exec_lo
	s_wait_dscnt 0x0
	v_cmpx_eq_u32_e64 v12, v4
	s_cbranch_execz .LBB2_32
; %bb.31:
	v_add_nc_u32_e32 v4, 0xffffff00, v10
	ds_load_b32 v4, v4
	s_wait_dscnt 0x0
	v_add_f32_e32 v13, v13, v4
.LBB2_32:
	s_or_b32 exec_lo, exec_lo, s11
.LBB2_33:
	s_delay_alu instid0(SALU_CYCLE_1)
	s_or_b32 exec_lo, exec_lo, s10
	s_load_b64 s[34:35], s[0:1], 0x38
	v_cmp_lt_u32_e64 s10, 0x7f, v0
	v_add_nc_u32_e32 v20, 0xfffffe00, v1
	s_barrier_signal -1
	s_barrier_wait -1
	ds_store_b32 v10, v13
	s_wait_dscnt 0x0
	s_barrier_signal -1
	s_barrier_wait -1
	s_and_saveexec_b32 s11, s10
	s_cbranch_execz .LBB2_37
; %bb.34:
	ds_load_b32 v4, v20
	s_mov_b32 s12, exec_lo
	s_wait_dscnt 0x0
	v_cmpx_eq_u32_e64 v12, v4
	s_cbranch_execz .LBB2_36
; %bb.35:
	v_add_nc_u32_e32 v4, 0xfffffe00, v10
	ds_load_b32 v4, v4
	s_wait_dscnt 0x0
	v_add_f32_e32 v13, v13, v4
.LBB2_36:
	s_or_b32 exec_lo, exec_lo, s12
.LBB2_37:
	s_delay_alu instid0(SALU_CYCLE_1)
	s_or_b32 exec_lo, exec_lo, s11
	v_cmp_gt_u32_e64 s11, 0xff, v0
	s_barrier_signal -1
	s_barrier_wait -1
	ds_store_b32 v10, v13
	s_wait_dscnt 0x0
	s_barrier_signal -1
	s_barrier_wait -1
	s_and_saveexec_b32 s13, s11
	s_cbranch_execz .LBB2_40
; %bb.38:
	ds_load_b32 v4, v1 offset:4
	v_cmp_lt_i32_e64 s12, -1, v12
	s_wait_dscnt 0x0
	v_cmp_ne_u32_e32 vcc_lo, v12, v4
	s_and_b32 s12, s12, vcc_lo
	s_delay_alu instid0(SALU_CYCLE_1)
	s_and_b32 exec_lo, exec_lo, s12
	s_cbranch_execz .LBB2_40
; %bb.39:
	s_wait_kmcnt 0x0
	global_load_b32 v4, v12, s[34:35] scale_offset
	s_wait_loadcnt 0x0
	v_fmac_f32_e32 v4, s28, v13
	global_store_b32 v12, v4, s[34:35] scale_offset
.LBB2_40:
	s_wait_xcnt 0x0
	s_or_b32 exec_lo, exec_lo, s13
	s_load_b128 s[12:15], s[0:1], 0x40
	s_cmp_lt_i32 s26, 2
	s_cbranch_scc1 .LBB2_87
; %bb.41:
	v_lshl_add_u64 v[8:9], v[2:3], 2, 0x400
	v_add_nc_u64_e32 v[2:3], 0x100, v[2:3]
	s_ashr_i32 s31, s30, 31
	v_dual_add_nc_u32 v21, -4, v10 :: v_dual_add_nc_u32 v22, -8, v10
	s_delay_alu instid0(VALU_DEP_3)
	v_add_nc_u64_e32 v[4:5], s[18:19], v[8:9]
	v_add_nc_u64_e32 v[6:7], s[20:21], v[8:9]
	v_add_nc_u64_e32 v[8:9], s[16:17], v[8:9]
	v_dual_add_nc_u32 v23, -16, v10 :: v_dual_mov_b32 v29, 0
	v_subrev_nc_u32_e32 v24, 32, v10
	v_subrev_nc_u32_e32 v25, 64, v10
	v_add_nc_u32_e32 v26, 0xffffff80, v10
	v_add_nc_u32_e32 v27, 0xffffff00, v10
	v_add_nc_u32_e32 v28, 0xfffffe00, v10
	s_wait_xcnt 0x0
	s_lshl_b64 s[0:1], s[30:31], 2
	s_delay_alu instid0(SALU_CYCLE_1)
	s_sub_nc_u64 s[16:17], s[22:23], s[0:1]
	s_add_co_i32 s1, s26, -1
	s_branch .LBB2_43
.LBB2_42:                               ;   in Loop: Header=BB2_43 Depth=1
	s_wait_xcnt 0x0
	s_or_b32 exec_lo, exec_lo, s18
	v_add_nc_u64_e32 v[4:5], 0x400, v[4:5]
	v_add_nc_u64_e32 v[6:7], 0x400, v[6:7]
	;; [unrolled: 1-line block ×4, first 2 shown]
	s_add_co_i32 s1, s1, -1
	s_delay_alu instid0(SALU_CYCLE_1)
	s_cmp_eq_u32 s1, 0
	s_cbranch_scc1 .LBB2_87
.LBB2_43:                               ; =>This Inner Loop Header: Depth=1
	v_dual_mov_b32 v12, -1 :: v_dual_mov_b32 v13, 0
	s_mov_b32 s0, exec_lo
	s_delay_alu instid0(VALU_DEP_2)
	v_cmpx_gt_i64_e64 s[24:25], v[2:3]
	s_cbranch_execz .LBB2_45
; %bb.44:                               ;   in Loop: Header=BB2_43 Depth=1
	global_load_b32 v12, v[4:5], off th:TH_LOAD_NT
	global_load_b32 v13, v[8:9], off th:TH_LOAD_NT
	;; [unrolled: 1-line block ×3, first 2 shown]
	s_wait_loadcnt 0x2
	global_load_b32 v31, v12, s[16:17] scale_offset
	s_wait_loadcnt 0x2
	s_wait_xcnt 0x0
	v_subrev_nc_u32_e32 v12, s30, v13
	s_wait_loadcnt 0x0
	v_mul_f32_e32 v13, v30, v31
.LBB2_45:                               ;   in Loop: Header=BB2_43 Depth=1
	s_or_b32 exec_lo, exec_lo, s0
	s_and_saveexec_b32 s0, s2
	s_cbranch_execz .LBB2_52
; %bb.46:                               ;   in Loop: Header=BB2_43 Depth=1
	ds_load_b32 v30, v29 offset:1020
	s_mov_b32 s18, exec_lo
	s_wait_dscnt 0x0
	v_cmpx_ne_u32_e64 v12, v30
	s_xor_b32 s18, exec_lo, s18
	s_cbranch_execz .LBB2_49
; %bb.47:                               ;   in Loop: Header=BB2_43 Depth=1
	v_cmp_gt_i32_e32 vcc_lo, 0, v30
	s_cbranch_vccnz .LBB2_49
; %bb.48:                               ;   in Loop: Header=BB2_43 Depth=1
	s_wait_kmcnt 0x0
	global_load_b32 v31, v30, s[34:35] scale_offset
	ds_load_b32 v32, v29 offset:2044
	s_wait_loadcnt_dscnt 0x0
	v_fmac_f32_e32 v31, s28, v32
	global_store_b32 v30, v31, s[34:35] scale_offset
.LBB2_49:                               ;   in Loop: Header=BB2_43 Depth=1
	s_wait_xcnt 0x0
	s_and_not1_saveexec_b32 s18, s18
	s_cbranch_execz .LBB2_51
; %bb.50:                               ;   in Loop: Header=BB2_43 Depth=1
	ds_load_b32 v30, v29 offset:2044
	s_wait_dscnt 0x0
	v_add_f32_e32 v13, v13, v30
.LBB2_51:                               ;   in Loop: Header=BB2_43 Depth=1
	s_or_b32 exec_lo, exec_lo, s18
.LBB2_52:                               ;   in Loop: Header=BB2_43 Depth=1
	s_delay_alu instid0(SALU_CYCLE_1)
	s_or_b32 exec_lo, exec_lo, s0
	s_wait_storecnt 0x0
	s_barrier_signal -1
	s_barrier_wait -1
	ds_store_b32 v1, v12
	ds_store_b32 v10, v13
	s_wait_dscnt 0x0
	s_barrier_signal -1
	s_barrier_wait -1
	s_and_saveexec_b32 s0, s3
	s_cbranch_execz .LBB2_56
; %bb.53:                               ;   in Loop: Header=BB2_43 Depth=1
	ds_load_b32 v30, v11
	s_mov_b32 s18, exec_lo
	s_wait_dscnt 0x0
	v_cmpx_eq_u32_e64 v12, v30
	s_cbranch_execz .LBB2_55
; %bb.54:                               ;   in Loop: Header=BB2_43 Depth=1
	ds_load_b32 v30, v21
	s_wait_dscnt 0x0
	v_add_f32_e32 v13, v13, v30
.LBB2_55:                               ;   in Loop: Header=BB2_43 Depth=1
	s_or_b32 exec_lo, exec_lo, s18
.LBB2_56:                               ;   in Loop: Header=BB2_43 Depth=1
	s_delay_alu instid0(SALU_CYCLE_1)
	s_or_b32 exec_lo, exec_lo, s0
	s_barrier_signal -1
	s_barrier_wait -1
	ds_store_b32 v10, v13
	s_wait_dscnt 0x0
	s_barrier_signal -1
	s_barrier_wait -1
	s_and_saveexec_b32 s0, s4
	s_cbranch_execz .LBB2_60
; %bb.57:                               ;   in Loop: Header=BB2_43 Depth=1
	ds_load_b32 v30, v14
	s_mov_b32 s18, exec_lo
	s_wait_dscnt 0x0
	v_cmpx_eq_u32_e64 v12, v30
	s_cbranch_execz .LBB2_59
; %bb.58:                               ;   in Loop: Header=BB2_43 Depth=1
	ds_load_b32 v30, v22
	s_wait_dscnt 0x0
	v_add_f32_e32 v13, v13, v30
.LBB2_59:                               ;   in Loop: Header=BB2_43 Depth=1
	s_or_b32 exec_lo, exec_lo, s18
.LBB2_60:                               ;   in Loop: Header=BB2_43 Depth=1
	s_delay_alu instid0(SALU_CYCLE_1)
	s_or_b32 exec_lo, exec_lo, s0
	s_barrier_signal -1
	s_barrier_wait -1
	;; [unrolled: 23-line block ×8, first 2 shown]
	ds_store_b32 v10, v13
	s_wait_dscnt 0x0
	s_barrier_signal -1
	s_barrier_wait -1
	s_and_saveexec_b32 s18, s11
	s_cbranch_execz .LBB2_42
; %bb.85:                               ;   in Loop: Header=BB2_43 Depth=1
	ds_load_b32 v30, v1 offset:4
	v_cmp_lt_i32_e64 s0, -1, v12
	s_wait_dscnt 0x0
	v_cmp_ne_u32_e32 vcc_lo, v12, v30
	s_and_b32 s0, s0, vcc_lo
	s_delay_alu instid0(SALU_CYCLE_1)
	s_and_b32 exec_lo, exec_lo, s0
	s_cbranch_execz .LBB2_42
; %bb.86:                               ;   in Loop: Header=BB2_43 Depth=1
	s_wait_kmcnt 0x0
	global_load_b32 v30, v12, s[34:35] scale_offset
	s_wait_loadcnt 0x0
	v_fmac_f32_e32 v30, s28, v13
	global_store_b32 v12, v30, s[34:35] scale_offset
	s_branch .LBB2_42
.LBB2_87:
	s_wait_xcnt 0x0
	s_mov_b32 s0, exec_lo
	v_cmpx_eq_u32_e32 0xff, v0
	s_cbranch_execz .LBB2_89
; %bb.88:
	v_dual_mov_b32 v0, s27 :: v_dual_mul_f32 v1, s28, v13
	s_wait_kmcnt 0x0
	s_clause 0x1
	global_store_b32 v0, v12, s[12:13] scale_offset th:TH_STORE_NT
	global_store_b32 v0, v1, s[14:15] scale_offset th:TH_STORE_NT
.LBB2_89:
	s_endpgm
	.section	.rodata,"a",@progbits
	.p2align	6, 0x0
	.amdhsa_kernel _ZN9rocsparseL22coomvn_segmented_loopsILj256EiffffEEvlT0_NS_24const_host_device_scalarIT4_EEPKS1_S6_PKT1_PKT2_PT3_PS1_PS3_21rocsparse_index_base_b
		.amdhsa_group_segment_fixed_size 2048
		.amdhsa_private_segment_fixed_size 0
		.amdhsa_kernarg_size 88
		.amdhsa_user_sgpr_count 2
		.amdhsa_user_sgpr_dispatch_ptr 0
		.amdhsa_user_sgpr_queue_ptr 0
		.amdhsa_user_sgpr_kernarg_segment_ptr 1
		.amdhsa_user_sgpr_dispatch_id 0
		.amdhsa_user_sgpr_kernarg_preload_length 0
		.amdhsa_user_sgpr_kernarg_preload_offset 0
		.amdhsa_user_sgpr_private_segment_size 0
		.amdhsa_wavefront_size32 1
		.amdhsa_uses_dynamic_stack 0
		.amdhsa_enable_private_segment 0
		.amdhsa_system_sgpr_workgroup_id_x 1
		.amdhsa_system_sgpr_workgroup_id_y 0
		.amdhsa_system_sgpr_workgroup_id_z 0
		.amdhsa_system_sgpr_workgroup_info 0
		.amdhsa_system_vgpr_workitem_id 0
		.amdhsa_next_free_vgpr 33
		.amdhsa_next_free_sgpr 36
		.amdhsa_named_barrier_count 0
		.amdhsa_reserve_vcc 1
		.amdhsa_float_round_mode_32 0
		.amdhsa_float_round_mode_16_64 0
		.amdhsa_float_denorm_mode_32 3
		.amdhsa_float_denorm_mode_16_64 3
		.amdhsa_fp16_overflow 0
		.amdhsa_memory_ordered 1
		.amdhsa_forward_progress 1
		.amdhsa_inst_pref_size 22
		.amdhsa_round_robin_scheduling 0
		.amdhsa_exception_fp_ieee_invalid_op 0
		.amdhsa_exception_fp_denorm_src 0
		.amdhsa_exception_fp_ieee_div_zero 0
		.amdhsa_exception_fp_ieee_overflow 0
		.amdhsa_exception_fp_ieee_underflow 0
		.amdhsa_exception_fp_ieee_inexact 0
		.amdhsa_exception_int_div_zero 0
	.end_amdhsa_kernel
	.section	.text._ZN9rocsparseL22coomvn_segmented_loopsILj256EiffffEEvlT0_NS_24const_host_device_scalarIT4_EEPKS1_S6_PKT1_PKT2_PT3_PS1_PS3_21rocsparse_index_base_b,"axG",@progbits,_ZN9rocsparseL22coomvn_segmented_loopsILj256EiffffEEvlT0_NS_24const_host_device_scalarIT4_EEPKS1_S6_PKT1_PKT2_PT3_PS1_PS3_21rocsparse_index_base_b,comdat
.Lfunc_end2:
	.size	_ZN9rocsparseL22coomvn_segmented_loopsILj256EiffffEEvlT0_NS_24const_host_device_scalarIT4_EEPKS1_S6_PKT1_PKT2_PT3_PS1_PS3_21rocsparse_index_base_b, .Lfunc_end2-_ZN9rocsparseL22coomvn_segmented_loopsILj256EiffffEEvlT0_NS_24const_host_device_scalarIT4_EEPKS1_S6_PKT1_PKT2_PT3_PS1_PS3_21rocsparse_index_base_b
                                        ; -- End function
	.set _ZN9rocsparseL22coomvn_segmented_loopsILj256EiffffEEvlT0_NS_24const_host_device_scalarIT4_EEPKS1_S6_PKT1_PKT2_PT3_PS1_PS3_21rocsparse_index_base_b.num_vgpr, 33
	.set _ZN9rocsparseL22coomvn_segmented_loopsILj256EiffffEEvlT0_NS_24const_host_device_scalarIT4_EEPKS1_S6_PKT1_PKT2_PT3_PS1_PS3_21rocsparse_index_base_b.num_agpr, 0
	.set _ZN9rocsparseL22coomvn_segmented_loopsILj256EiffffEEvlT0_NS_24const_host_device_scalarIT4_EEPKS1_S6_PKT1_PKT2_PT3_PS1_PS3_21rocsparse_index_base_b.numbered_sgpr, 36
	.set _ZN9rocsparseL22coomvn_segmented_loopsILj256EiffffEEvlT0_NS_24const_host_device_scalarIT4_EEPKS1_S6_PKT1_PKT2_PT3_PS1_PS3_21rocsparse_index_base_b.num_named_barrier, 0
	.set _ZN9rocsparseL22coomvn_segmented_loopsILj256EiffffEEvlT0_NS_24const_host_device_scalarIT4_EEPKS1_S6_PKT1_PKT2_PT3_PS1_PS3_21rocsparse_index_base_b.private_seg_size, 0
	.set _ZN9rocsparseL22coomvn_segmented_loopsILj256EiffffEEvlT0_NS_24const_host_device_scalarIT4_EEPKS1_S6_PKT1_PKT2_PT3_PS1_PS3_21rocsparse_index_base_b.uses_vcc, 1
	.set _ZN9rocsparseL22coomvn_segmented_loopsILj256EiffffEEvlT0_NS_24const_host_device_scalarIT4_EEPKS1_S6_PKT1_PKT2_PT3_PS1_PS3_21rocsparse_index_base_b.uses_flat_scratch, 0
	.set _ZN9rocsparseL22coomvn_segmented_loopsILj256EiffffEEvlT0_NS_24const_host_device_scalarIT4_EEPKS1_S6_PKT1_PKT2_PT3_PS1_PS3_21rocsparse_index_base_b.has_dyn_sized_stack, 0
	.set _ZN9rocsparseL22coomvn_segmented_loopsILj256EiffffEEvlT0_NS_24const_host_device_scalarIT4_EEPKS1_S6_PKT1_PKT2_PT3_PS1_PS3_21rocsparse_index_base_b.has_recursion, 0
	.set _ZN9rocsparseL22coomvn_segmented_loopsILj256EiffffEEvlT0_NS_24const_host_device_scalarIT4_EEPKS1_S6_PKT1_PKT2_PT3_PS1_PS3_21rocsparse_index_base_b.has_indirect_call, 0
	.section	.AMDGPU.csdata,"",@progbits
; Kernel info:
; codeLenInByte = 2700
; TotalNumSgprs: 38
; NumVgprs: 33
; ScratchSize: 0
; MemoryBound: 0
; FloatMode: 240
; IeeeMode: 1
; LDSByteSize: 2048 bytes/workgroup (compile time only)
; SGPRBlocks: 0
; VGPRBlocks: 2
; NumSGPRsForWavesPerEU: 38
; NumVGPRsForWavesPerEU: 33
; NamedBarCnt: 0
; Occupancy: 16
; WaveLimiterHint : 1
; COMPUTE_PGM_RSRC2:SCRATCH_EN: 0
; COMPUTE_PGM_RSRC2:USER_SGPR: 2
; COMPUTE_PGM_RSRC2:TRAP_HANDLER: 0
; COMPUTE_PGM_RSRC2:TGID_X_EN: 1
; COMPUTE_PGM_RSRC2:TGID_Y_EN: 0
; COMPUTE_PGM_RSRC2:TGID_Z_EN: 0
; COMPUTE_PGM_RSRC2:TIDIG_COMP_CNT: 0
	.section	.text._ZN9rocsparseL29coomvn_segmented_loops_reduceILj256EiffEEvT0_NS_24const_host_device_scalarIT2_EEPKS1_PKS3_PT1_b,"axG",@progbits,_ZN9rocsparseL29coomvn_segmented_loops_reduceILj256EiffEEvT0_NS_24const_host_device_scalarIT2_EEPKS1_PKS3_PT1_b,comdat
	.globl	_ZN9rocsparseL29coomvn_segmented_loops_reduceILj256EiffEEvT0_NS_24const_host_device_scalarIT2_EEPKS1_PKS3_PT1_b ; -- Begin function _ZN9rocsparseL29coomvn_segmented_loops_reduceILj256EiffEEvT0_NS_24const_host_device_scalarIT2_EEPKS1_PKS3_PT1_b
	.p2align	8
	.type	_ZN9rocsparseL29coomvn_segmented_loops_reduceILj256EiffEEvT0_NS_24const_host_device_scalarIT2_EEPKS1_PKS3_PT1_b,@function
_ZN9rocsparseL29coomvn_segmented_loops_reduceILj256EiffEEvT0_NS_24const_host_device_scalarIT2_EEPKS1_PKS3_PT1_b: ; @_ZN9rocsparseL29coomvn_segmented_loops_reduceILj256EiffEEvT0_NS_24const_host_device_scalarIT2_EEPKS1_PKS3_PT1_b
; %bb.0:
	s_clause 0x1
	s_load_b32 s4, s[0:1], 0x28
	s_load_b64 s[2:3], s[0:1], 0x8
	s_wait_kmcnt 0x0
	s_bitcmp1_b32 s4, 0
	s_cselect_b32 s4, -1, 0
	s_delay_alu instid0(SALU_CYCLE_1)
	s_and_b32 vcc_lo, exec_lo, s4
	s_cbranch_vccnz .LBB3_2
; %bb.1:
	s_load_b32 s2, s[2:3], 0x0
.LBB3_2:
	s_wait_kmcnt 0x0
	s_cmp_eq_f32 s2, 0
	s_cbranch_scc1 .LBB3_44
; %bb.3:
	s_load_b32 s8, s[0:1], 0x0
	s_wait_kmcnt 0x0
	s_cmp_lt_i32 s8, 1
	s_cbranch_scc1 .LBB3_44
; %bb.4:
	s_clause 0x1
	s_load_b128 s[4:7], s[0:1], 0x10
	s_load_b64 s[2:3], s[0:1], 0x20
	s_wait_xcnt 0x0
	v_sub_co_u32 v4, s0, v0, 1
	s_xor_b32 s9, s0, -1
	v_sub_co_u32 v6, s0, v0, 2
	s_xor_b32 s10, s0, -1
	;; [unrolled: 2-line block ×5, first 2 shown]
	v_sub_co_u32 v14, s0, v0, 32
	v_lshlrev_b32_e32 v1, 2, v0
	s_xor_b32 s14, s0, -1
	v_sub_co_u32 v16, s0, v0, 64
	v_subrev_co_u32 v18, s1, 0x80, v0
	s_delay_alu instid0(VALU_DEP_3)
	v_or_b32_e32 v2, 0x400, v1
	v_dual_add_nc_u32 v3, -4, v1 :: v_dual_add_nc_u32 v5, -8, v1
	v_lshl_add_u32 v4, v4, 2, 0x400
	v_lshl_add_u32 v6, v6, 2, 0x400
	v_add_nc_u32_e32 v7, -16, v1
	v_lshl_add_u32 v8, v8, 2, 0x400
	v_subrev_nc_u32_e32 v9, 32, v1
	v_lshl_add_u32 v10, v10, 2, 0x400
	v_subrev_nc_u32_e32 v11, 64, v1
	v_lshl_add_u32 v12, v12, 2, 0x400
	v_add_nc_u32_e32 v13, 0xffffff80, v1
	v_lshl_add_u32 v14, v14, 2, 0x400
	v_add_nc_u32_e32 v15, 0xffffff00, v1
	;; [unrolled: 2-line block ×3, first 2 shown]
	v_lshl_add_u32 v18, v18, 2, 0x400
	s_xor_b32 s15, s0, -1
	s_xor_b32 s16, s1, -1
	s_mov_b32 s17, 0
	v_cmp_gt_u32_e32 vcc_lo, 0xff, v0
	s_branch .LBB3_6
.LBB3_5:                                ;   in Loop: Header=BB3_6 Depth=1
	s_wait_xcnt 0x0
	s_or_b32 exec_lo, exec_lo, s0
	s_addk_co_i32 s17, 0x100
	s_wait_storecnt 0x0
	s_cmp_lt_i32 s17, s8
	s_barrier_signal -1
	s_barrier_wait -1
	s_cbranch_scc0 .LBB3_44
.LBB3_6:                                ; =>This Inner Loop Header: Depth=1
	v_dual_add_nc_u32 v21, s17, v0 :: v_dual_mov_b32 v19, 0
	v_dual_mov_b32 v20, -1 :: v_dual_mov_b32 v22, 0
	s_mov_b32 s1, exec_lo
	s_delay_alu instid0(VALU_DEP_2)
	v_cmpx_gt_i32_e64 s8, v21
	s_cbranch_execz .LBB3_8
; %bb.7:                                ;   in Loop: Header=BB3_6 Depth=1
	s_wait_kmcnt 0x0
	s_clause 0x1
	global_load_b32 v20, v21, s[4:5] scale_offset
	global_load_b32 v22, v21, s[6:7] scale_offset
.LBB3_8:                                ;   in Loop: Header=BB3_6 Depth=1
	s_wait_xcnt 0x0
	s_or_b32 exec_lo, exec_lo, s1
	s_wait_loadcnt 0x1
	ds_store_b32 v1, v20
	s_wait_loadcnt 0x0
	ds_store_b32 v2, v22
	s_wait_dscnt 0x0
	s_barrier_signal -1
	s_barrier_wait -1
	s_and_saveexec_b32 s1, s9
	s_cbranch_execz .LBB3_12
; %bb.9:                                ;   in Loop: Header=BB3_6 Depth=1
	ds_load_2addr_b32 v[20:21], v3 offset1:1
	v_mov_b32_e32 v19, 0
	s_mov_b32 s18, exec_lo
	s_wait_dscnt 0x0
	v_cmpx_eq_u32_e64 v21, v20
; %bb.10:                               ;   in Loop: Header=BB3_6 Depth=1
	ds_load_b32 v19, v4
; %bb.11:                               ;   in Loop: Header=BB3_6 Depth=1
	s_or_b32 exec_lo, exec_lo, s18
.LBB3_12:                               ;   in Loop: Header=BB3_6 Depth=1
	s_delay_alu instid0(SALU_CYCLE_1)
	s_or_b32 exec_lo, exec_lo, s1
	s_wait_dscnt 0x0
	s_barrier_signal -1
	s_barrier_wait -1
	ds_load_b32 v20, v2
	s_wait_dscnt 0x0
	v_dual_add_f32 v21, v19, v20 :: v_dual_mov_b32 v19, 0
	v_mov_b32_e32 v20, 0
	ds_store_b32 v2, v21
	s_wait_dscnt 0x0
	s_barrier_signal -1
	s_barrier_wait -1
	s_and_saveexec_b32 s1, s10
	s_cbranch_execz .LBB3_16
; %bb.13:                               ;   in Loop: Header=BB3_6 Depth=1
	ds_load_b32 v20, v1
	ds_load_b32 v21, v5
	s_wait_dscnt 0x0
	v_cmp_eq_u32_e64 s0, v20, v21
	v_mov_b32_e32 v20, 0
	s_and_saveexec_b32 s18, s0
; %bb.14:                               ;   in Loop: Header=BB3_6 Depth=1
	ds_load_b32 v20, v6
; %bb.15:                               ;   in Loop: Header=BB3_6 Depth=1
	s_or_b32 exec_lo, exec_lo, s18
.LBB3_16:                               ;   in Loop: Header=BB3_6 Depth=1
	s_delay_alu instid0(SALU_CYCLE_1)
	s_or_b32 exec_lo, exec_lo, s1
	s_wait_dscnt 0x0
	s_barrier_signal -1
	s_barrier_wait -1
	ds_load_b32 v21, v2
	s_wait_dscnt 0x0
	v_add_f32_e32 v20, v20, v21
	ds_store_b32 v2, v20
	s_wait_dscnt 0x0
	s_barrier_signal -1
	s_barrier_wait -1
	s_and_saveexec_b32 s1, s11
	s_cbranch_execz .LBB3_20
; %bb.17:                               ;   in Loop: Header=BB3_6 Depth=1
	ds_load_b32 v19, v1
	ds_load_b32 v20, v7
	s_wait_dscnt 0x0
	v_cmp_eq_u32_e64 s0, v19, v20
	v_mov_b32_e32 v19, 0
	s_and_saveexec_b32 s18, s0
; %bb.18:                               ;   in Loop: Header=BB3_6 Depth=1
	ds_load_b32 v19, v8
; %bb.19:                               ;   in Loop: Header=BB3_6 Depth=1
	s_or_b32 exec_lo, exec_lo, s18
.LBB3_20:                               ;   in Loop: Header=BB3_6 Depth=1
	s_delay_alu instid0(SALU_CYCLE_1)
	s_or_b32 exec_lo, exec_lo, s1
	s_wait_dscnt 0x0
	s_barrier_signal -1
	s_barrier_wait -1
	ds_load_b32 v20, v2
	s_wait_dscnt 0x0
	v_dual_add_f32 v21, v19, v20 :: v_dual_mov_b32 v19, 0
	v_mov_b32_e32 v20, 0
	ds_store_b32 v2, v21
	s_wait_dscnt 0x0
	s_barrier_signal -1
	s_barrier_wait -1
	s_and_saveexec_b32 s1, s12
	s_cbranch_execz .LBB3_24
; %bb.21:                               ;   in Loop: Header=BB3_6 Depth=1
	ds_load_b32 v20, v1
	ds_load_b32 v21, v9
	s_wait_dscnt 0x0
	v_cmp_eq_u32_e64 s0, v20, v21
	v_mov_b32_e32 v20, 0
	s_and_saveexec_b32 s18, s0
; %bb.22:                               ;   in Loop: Header=BB3_6 Depth=1
	ds_load_b32 v20, v10
; %bb.23:                               ;   in Loop: Header=BB3_6 Depth=1
	s_or_b32 exec_lo, exec_lo, s18
.LBB3_24:                               ;   in Loop: Header=BB3_6 Depth=1
	s_delay_alu instid0(SALU_CYCLE_1)
	s_or_b32 exec_lo, exec_lo, s1
	s_wait_dscnt 0x0
	s_barrier_signal -1
	s_barrier_wait -1
	ds_load_b32 v21, v2
	s_wait_dscnt 0x0
	v_add_f32_e32 v20, v20, v21
	ds_store_b32 v2, v20
	s_wait_dscnt 0x0
	s_barrier_signal -1
	s_barrier_wait -1
	s_and_saveexec_b32 s1, s13
	s_cbranch_execz .LBB3_28
; %bb.25:                               ;   in Loop: Header=BB3_6 Depth=1
	ds_load_b32 v19, v1
	ds_load_b32 v20, v11
	s_wait_dscnt 0x0
	v_cmp_eq_u32_e64 s0, v19, v20
	v_mov_b32_e32 v19, 0
	s_and_saveexec_b32 s18, s0
; %bb.26:                               ;   in Loop: Header=BB3_6 Depth=1
	ds_load_b32 v19, v12
; %bb.27:                               ;   in Loop: Header=BB3_6 Depth=1
	s_or_b32 exec_lo, exec_lo, s18
.LBB3_28:                               ;   in Loop: Header=BB3_6 Depth=1
	;; [unrolled: 53-line block ×3, first 2 shown]
	s_delay_alu instid0(SALU_CYCLE_1)
	s_or_b32 exec_lo, exec_lo, s1
	s_wait_dscnt 0x0
	s_barrier_signal -1
	s_barrier_wait -1
	ds_load_b32 v20, v2
	s_wait_dscnt 0x0
	v_dual_add_f32 v20, v19, v20 :: v_dual_mov_b32 v19, 0
	ds_store_b32 v2, v20
	s_wait_dscnt 0x0
	s_barrier_signal -1
	s_barrier_wait -1
	s_and_saveexec_b32 s1, s16
	s_cbranch_execz .LBB3_40
; %bb.37:                               ;   in Loop: Header=BB3_6 Depth=1
	ds_load_b32 v19, v1
	ds_load_b32 v20, v17
	s_wait_dscnt 0x0
	v_cmp_eq_u32_e64 s0, v19, v20
	v_mov_b32_e32 v19, 0
	s_and_saveexec_b32 s18, s0
; %bb.38:                               ;   in Loop: Header=BB3_6 Depth=1
	ds_load_b32 v19, v18
; %bb.39:                               ;   in Loop: Header=BB3_6 Depth=1
	s_or_b32 exec_lo, exec_lo, s18
.LBB3_40:                               ;   in Loop: Header=BB3_6 Depth=1
	s_delay_alu instid0(SALU_CYCLE_1)
	s_or_b32 exec_lo, exec_lo, s1
	s_wait_dscnt 0x0
	s_barrier_signal -1
	s_barrier_wait -1
	ds_load_b32 v20, v2
	s_wait_dscnt 0x0
	v_dual_add_f32 v19, v19, v20 :: v_dual_mov_b32 v20, -1
	ds_store_b32 v2, v19
	s_wait_dscnt 0x0
	s_barrier_signal -1
	s_barrier_wait -1
	ds_load_b32 v19, v1
	s_and_saveexec_b32 s0, vcc_lo
; %bb.41:                               ;   in Loop: Header=BB3_6 Depth=1
	ds_load_b32 v20, v1 offset:4
; %bb.42:                               ;   in Loop: Header=BB3_6 Depth=1
	s_or_b32 exec_lo, exec_lo, s0
	s_wait_dscnt 0x0
	v_cmp_ne_u32_e64 s0, v19, v20
	v_cmp_lt_i32_e64 s1, -1, v19
	s_and_b32 s1, s1, s0
	s_delay_alu instid0(SALU_CYCLE_1)
	s_and_saveexec_b32 s0, s1
	s_cbranch_execz .LBB3_5
; %bb.43:                               ;   in Loop: Header=BB3_6 Depth=1
	s_wait_kmcnt 0x0
	global_load_b32 v20, v19, s[2:3] scale_offset
	ds_load_b32 v21, v2
	s_wait_loadcnt_dscnt 0x0
	v_add_f32_e32 v20, v20, v21
	global_store_b32 v19, v20, s[2:3] scale_offset
	s_branch .LBB3_5
.LBB3_44:
	s_endpgm
	.section	.rodata,"a",@progbits
	.p2align	6, 0x0
	.amdhsa_kernel _ZN9rocsparseL29coomvn_segmented_loops_reduceILj256EiffEEvT0_NS_24const_host_device_scalarIT2_EEPKS1_PKS3_PT1_b
		.amdhsa_group_segment_fixed_size 2048
		.amdhsa_private_segment_fixed_size 0
		.amdhsa_kernarg_size 44
		.amdhsa_user_sgpr_count 2
		.amdhsa_user_sgpr_dispatch_ptr 0
		.amdhsa_user_sgpr_queue_ptr 0
		.amdhsa_user_sgpr_kernarg_segment_ptr 1
		.amdhsa_user_sgpr_dispatch_id 0
		.amdhsa_user_sgpr_kernarg_preload_length 0
		.amdhsa_user_sgpr_kernarg_preload_offset 0
		.amdhsa_user_sgpr_private_segment_size 0
		.amdhsa_wavefront_size32 1
		.amdhsa_uses_dynamic_stack 0
		.amdhsa_enable_private_segment 0
		.amdhsa_system_sgpr_workgroup_id_x 1
		.amdhsa_system_sgpr_workgroup_id_y 0
		.amdhsa_system_sgpr_workgroup_id_z 0
		.amdhsa_system_sgpr_workgroup_info 0
		.amdhsa_system_vgpr_workitem_id 0
		.amdhsa_next_free_vgpr 23
		.amdhsa_next_free_sgpr 19
		.amdhsa_named_barrier_count 0
		.amdhsa_reserve_vcc 1
		.amdhsa_float_round_mode_32 0
		.amdhsa_float_round_mode_16_64 0
		.amdhsa_float_denorm_mode_32 3
		.amdhsa_float_denorm_mode_16_64 3
		.amdhsa_fp16_overflow 0
		.amdhsa_memory_ordered 1
		.amdhsa_forward_progress 1
		.amdhsa_inst_pref_size 13
		.amdhsa_round_robin_scheduling 0
		.amdhsa_exception_fp_ieee_invalid_op 0
		.amdhsa_exception_fp_denorm_src 0
		.amdhsa_exception_fp_ieee_div_zero 0
		.amdhsa_exception_fp_ieee_overflow 0
		.amdhsa_exception_fp_ieee_underflow 0
		.amdhsa_exception_fp_ieee_inexact 0
		.amdhsa_exception_int_div_zero 0
	.end_amdhsa_kernel
	.section	.text._ZN9rocsparseL29coomvn_segmented_loops_reduceILj256EiffEEvT0_NS_24const_host_device_scalarIT2_EEPKS1_PKS3_PT1_b,"axG",@progbits,_ZN9rocsparseL29coomvn_segmented_loops_reduceILj256EiffEEvT0_NS_24const_host_device_scalarIT2_EEPKS1_PKS3_PT1_b,comdat
.Lfunc_end3:
	.size	_ZN9rocsparseL29coomvn_segmented_loops_reduceILj256EiffEEvT0_NS_24const_host_device_scalarIT2_EEPKS1_PKS3_PT1_b, .Lfunc_end3-_ZN9rocsparseL29coomvn_segmented_loops_reduceILj256EiffEEvT0_NS_24const_host_device_scalarIT2_EEPKS1_PKS3_PT1_b
                                        ; -- End function
	.set _ZN9rocsparseL29coomvn_segmented_loops_reduceILj256EiffEEvT0_NS_24const_host_device_scalarIT2_EEPKS1_PKS3_PT1_b.num_vgpr, 23
	.set _ZN9rocsparseL29coomvn_segmented_loops_reduceILj256EiffEEvT0_NS_24const_host_device_scalarIT2_EEPKS1_PKS3_PT1_b.num_agpr, 0
	.set _ZN9rocsparseL29coomvn_segmented_loops_reduceILj256EiffEEvT0_NS_24const_host_device_scalarIT2_EEPKS1_PKS3_PT1_b.numbered_sgpr, 19
	.set _ZN9rocsparseL29coomvn_segmented_loops_reduceILj256EiffEEvT0_NS_24const_host_device_scalarIT2_EEPKS1_PKS3_PT1_b.num_named_barrier, 0
	.set _ZN9rocsparseL29coomvn_segmented_loops_reduceILj256EiffEEvT0_NS_24const_host_device_scalarIT2_EEPKS1_PKS3_PT1_b.private_seg_size, 0
	.set _ZN9rocsparseL29coomvn_segmented_loops_reduceILj256EiffEEvT0_NS_24const_host_device_scalarIT2_EEPKS1_PKS3_PT1_b.uses_vcc, 1
	.set _ZN9rocsparseL29coomvn_segmented_loops_reduceILj256EiffEEvT0_NS_24const_host_device_scalarIT2_EEPKS1_PKS3_PT1_b.uses_flat_scratch, 0
	.set _ZN9rocsparseL29coomvn_segmented_loops_reduceILj256EiffEEvT0_NS_24const_host_device_scalarIT2_EEPKS1_PKS3_PT1_b.has_dyn_sized_stack, 0
	.set _ZN9rocsparseL29coomvn_segmented_loops_reduceILj256EiffEEvT0_NS_24const_host_device_scalarIT2_EEPKS1_PKS3_PT1_b.has_recursion, 0
	.set _ZN9rocsparseL29coomvn_segmented_loops_reduceILj256EiffEEvT0_NS_24const_host_device_scalarIT2_EEPKS1_PKS3_PT1_b.has_indirect_call, 0
	.section	.AMDGPU.csdata,"",@progbits
; Kernel info:
; codeLenInByte = 1580
; TotalNumSgprs: 21
; NumVgprs: 23
; ScratchSize: 0
; MemoryBound: 0
; FloatMode: 240
; IeeeMode: 1
; LDSByteSize: 2048 bytes/workgroup (compile time only)
; SGPRBlocks: 0
; VGPRBlocks: 1
; NumSGPRsForWavesPerEU: 21
; NumVGPRsForWavesPerEU: 23
; NamedBarCnt: 0
; Occupancy: 16
; WaveLimiterHint : 0
; COMPUTE_PGM_RSRC2:SCRATCH_EN: 0
; COMPUTE_PGM_RSRC2:USER_SGPR: 2
; COMPUTE_PGM_RSRC2:TRAP_HANDLER: 0
; COMPUTE_PGM_RSRC2:TGID_X_EN: 1
; COMPUTE_PGM_RSRC2:TGID_Y_EN: 0
; COMPUTE_PGM_RSRC2:TGID_Z_EN: 0
; COMPUTE_PGM_RSRC2:TIDIG_COMP_CNT: 0
	.section	.text._ZN9rocsparseL13coomvt_kernelILj1024EiffffEEv20rocsparse_operation_lNS_24const_host_device_scalarIT4_EEPKT0_S7_PKT1_PKT2_PT3_21rocsparse_index_base_b,"axG",@progbits,_ZN9rocsparseL13coomvt_kernelILj1024EiffffEEv20rocsparse_operation_lNS_24const_host_device_scalarIT4_EEPKT0_S7_PKT1_PKT2_PT3_21rocsparse_index_base_b,comdat
	.globl	_ZN9rocsparseL13coomvt_kernelILj1024EiffffEEv20rocsparse_operation_lNS_24const_host_device_scalarIT4_EEPKT0_S7_PKT1_PKT2_PT3_21rocsparse_index_base_b ; -- Begin function _ZN9rocsparseL13coomvt_kernelILj1024EiffffEEv20rocsparse_operation_lNS_24const_host_device_scalarIT4_EEPKT0_S7_PKT1_PKT2_PT3_21rocsparse_index_base_b
	.p2align	8
	.type	_ZN9rocsparseL13coomvt_kernelILj1024EiffffEEv20rocsparse_operation_lNS_24const_host_device_scalarIT4_EEPKT0_S7_PKT1_PKT2_PT3_21rocsparse_index_base_b,@function
_ZN9rocsparseL13coomvt_kernelILj1024EiffffEEv20rocsparse_operation_lNS_24const_host_device_scalarIT4_EEPKT0_S7_PKT1_PKT2_PT3_21rocsparse_index_base_b: ; @_ZN9rocsparseL13coomvt_kernelILj1024EiffffEEv20rocsparse_operation_lNS_24const_host_device_scalarIT4_EEPKT0_S7_PKT1_PKT2_PT3_21rocsparse_index_base_b
; %bb.0:
	s_clause 0x1
	s_load_b64 s[2:3], s[0:1], 0x40
	s_load_b128 s[4:7], s[0:1], 0x8
	s_wait_kmcnt 0x0
	s_bitcmp1_b32 s3, 0
	s_cselect_b32 s3, -1, 0
	s_delay_alu instid0(SALU_CYCLE_1)
	s_and_b32 vcc_lo, exec_lo, s3
	s_cbranch_vccnz .LBB4_2
; %bb.1:
	s_load_b32 s6, s[6:7], 0x0
.LBB4_2:
	s_wait_kmcnt 0x0
	s_cmp_eq_f32 s6, 0
	s_cbranch_scc1 .LBB4_5
; %bb.3:
	s_load_b32 s3, s[0:1], 0x54
	s_bfe_u32 s7, ttmp6, 0x4000c
	s_and_b32 s8, ttmp6, 15
	s_add_co_i32 s7, s7, 1
	s_getreg_b32 s9, hwreg(HW_REG_IB_STS2, 6, 4)
	s_mul_i32 s7, ttmp9, s7
	v_mov_b32_e32 v1, 0
	s_add_co_i32 s8, s8, s7
	s_wait_kmcnt 0x0
	s_and_b32 s3, s3, 0xffff
	s_cmp_eq_u32 s9, 0
	s_cselect_b32 s7, ttmp9, s8
	s_delay_alu instid0(SALU_CYCLE_1) | instskip(SKIP_1) | instid1(VALU_DEP_1)
	v_mad_u32 v0, s7, s3, v0
	s_mov_b32 s3, exec_lo
	v_cmpx_gt_i64_e64 s[4:5], v[0:1]
	s_cbranch_execz .LBB4_5
; %bb.4:
	s_load_b256 s[8:15], s[0:1], 0x18
	v_lshlrev_b64_e32 v[0:1], 2, v[0:1]
	s_wait_xcnt 0x0
	s_load_b64 s[0:1], s[0:1], 0x38
	s_wait_kmcnt 0x0
	s_delay_alu instid0(VALU_DEP_1)
	v_add_nc_u64_e32 v[2:3], s[8:9], v[0:1]
	global_load_b32 v4, v[2:3], off
	s_wait_xcnt 0x0
	v_add_nc_u64_e32 v[2:3], s[12:13], v[0:1]
	v_add_nc_u64_e32 v[0:1], s[10:11], v[0:1]
	s_wait_loadcnt 0x0
	v_subrev_nc_u32_e32 v4, s2, v4
	global_load_b32 v5, v[2:3], off
	global_load_b32 v6, v[0:1], off
	global_load_b32 v7, v4, s[14:15] scale_offset
	s_wait_loadcnt 0x2
	s_wait_xcnt 0x1
	v_mul_f32_e32 v0, s6, v5
	s_wait_loadcnt 0x1
	v_subrev_nc_u32_e32 v1, s2, v6
	s_wait_loadcnt 0x0
	s_delay_alu instid0(VALU_DEP_2)
	v_mul_f32_e32 v0, v0, v7
	global_atomic_add_f32 v1, v0, s[0:1] scale_offset scope:SCOPE_DEV
.LBB4_5:
	s_endpgm
	.section	.rodata,"a",@progbits
	.p2align	6, 0x0
	.amdhsa_kernel _ZN9rocsparseL13coomvt_kernelILj1024EiffffEEv20rocsparse_operation_lNS_24const_host_device_scalarIT4_EEPKT0_S7_PKT1_PKT2_PT3_21rocsparse_index_base_b
		.amdhsa_group_segment_fixed_size 0
		.amdhsa_private_segment_fixed_size 0
		.amdhsa_kernarg_size 328
		.amdhsa_user_sgpr_count 2
		.amdhsa_user_sgpr_dispatch_ptr 0
		.amdhsa_user_sgpr_queue_ptr 0
		.amdhsa_user_sgpr_kernarg_segment_ptr 1
		.amdhsa_user_sgpr_dispatch_id 0
		.amdhsa_user_sgpr_kernarg_preload_length 0
		.amdhsa_user_sgpr_kernarg_preload_offset 0
		.amdhsa_user_sgpr_private_segment_size 0
		.amdhsa_wavefront_size32 1
		.amdhsa_uses_dynamic_stack 0
		.amdhsa_enable_private_segment 0
		.amdhsa_system_sgpr_workgroup_id_x 1
		.amdhsa_system_sgpr_workgroup_id_y 0
		.amdhsa_system_sgpr_workgroup_id_z 0
		.amdhsa_system_sgpr_workgroup_info 0
		.amdhsa_system_vgpr_workitem_id 0
		.amdhsa_next_free_vgpr 8
		.amdhsa_next_free_sgpr 16
		.amdhsa_named_barrier_count 0
		.amdhsa_reserve_vcc 1
		.amdhsa_float_round_mode_32 0
		.amdhsa_float_round_mode_16_64 0
		.amdhsa_float_denorm_mode_32 3
		.amdhsa_float_denorm_mode_16_64 3
		.amdhsa_fp16_overflow 0
		.amdhsa_memory_ordered 1
		.amdhsa_forward_progress 1
		.amdhsa_inst_pref_size 3
		.amdhsa_round_robin_scheduling 0
		.amdhsa_exception_fp_ieee_invalid_op 0
		.amdhsa_exception_fp_denorm_src 0
		.amdhsa_exception_fp_ieee_div_zero 0
		.amdhsa_exception_fp_ieee_overflow 0
		.amdhsa_exception_fp_ieee_underflow 0
		.amdhsa_exception_fp_ieee_inexact 0
		.amdhsa_exception_int_div_zero 0
	.end_amdhsa_kernel
	.section	.text._ZN9rocsparseL13coomvt_kernelILj1024EiffffEEv20rocsparse_operation_lNS_24const_host_device_scalarIT4_EEPKT0_S7_PKT1_PKT2_PT3_21rocsparse_index_base_b,"axG",@progbits,_ZN9rocsparseL13coomvt_kernelILj1024EiffffEEv20rocsparse_operation_lNS_24const_host_device_scalarIT4_EEPKT0_S7_PKT1_PKT2_PT3_21rocsparse_index_base_b,comdat
.Lfunc_end4:
	.size	_ZN9rocsparseL13coomvt_kernelILj1024EiffffEEv20rocsparse_operation_lNS_24const_host_device_scalarIT4_EEPKT0_S7_PKT1_PKT2_PT3_21rocsparse_index_base_b, .Lfunc_end4-_ZN9rocsparseL13coomvt_kernelILj1024EiffffEEv20rocsparse_operation_lNS_24const_host_device_scalarIT4_EEPKT0_S7_PKT1_PKT2_PT3_21rocsparse_index_base_b
                                        ; -- End function
	.set _ZN9rocsparseL13coomvt_kernelILj1024EiffffEEv20rocsparse_operation_lNS_24const_host_device_scalarIT4_EEPKT0_S7_PKT1_PKT2_PT3_21rocsparse_index_base_b.num_vgpr, 8
	.set _ZN9rocsparseL13coomvt_kernelILj1024EiffffEEv20rocsparse_operation_lNS_24const_host_device_scalarIT4_EEPKT0_S7_PKT1_PKT2_PT3_21rocsparse_index_base_b.num_agpr, 0
	.set _ZN9rocsparseL13coomvt_kernelILj1024EiffffEEv20rocsparse_operation_lNS_24const_host_device_scalarIT4_EEPKT0_S7_PKT1_PKT2_PT3_21rocsparse_index_base_b.numbered_sgpr, 16
	.set _ZN9rocsparseL13coomvt_kernelILj1024EiffffEEv20rocsparse_operation_lNS_24const_host_device_scalarIT4_EEPKT0_S7_PKT1_PKT2_PT3_21rocsparse_index_base_b.num_named_barrier, 0
	.set _ZN9rocsparseL13coomvt_kernelILj1024EiffffEEv20rocsparse_operation_lNS_24const_host_device_scalarIT4_EEPKT0_S7_PKT1_PKT2_PT3_21rocsparse_index_base_b.private_seg_size, 0
	.set _ZN9rocsparseL13coomvt_kernelILj1024EiffffEEv20rocsparse_operation_lNS_24const_host_device_scalarIT4_EEPKT0_S7_PKT1_PKT2_PT3_21rocsparse_index_base_b.uses_vcc, 1
	.set _ZN9rocsparseL13coomvt_kernelILj1024EiffffEEv20rocsparse_operation_lNS_24const_host_device_scalarIT4_EEPKT0_S7_PKT1_PKT2_PT3_21rocsparse_index_base_b.uses_flat_scratch, 0
	.set _ZN9rocsparseL13coomvt_kernelILj1024EiffffEEv20rocsparse_operation_lNS_24const_host_device_scalarIT4_EEPKT0_S7_PKT1_PKT2_PT3_21rocsparse_index_base_b.has_dyn_sized_stack, 0
	.set _ZN9rocsparseL13coomvt_kernelILj1024EiffffEEv20rocsparse_operation_lNS_24const_host_device_scalarIT4_EEPKT0_S7_PKT1_PKT2_PT3_21rocsparse_index_base_b.has_recursion, 0
	.set _ZN9rocsparseL13coomvt_kernelILj1024EiffffEEv20rocsparse_operation_lNS_24const_host_device_scalarIT4_EEPKT0_S7_PKT1_PKT2_PT3_21rocsparse_index_base_b.has_indirect_call, 0
	.section	.AMDGPU.csdata,"",@progbits
; Kernel info:
; codeLenInByte = 304
; TotalNumSgprs: 18
; NumVgprs: 8
; ScratchSize: 0
; MemoryBound: 0
; FloatMode: 240
; IeeeMode: 1
; LDSByteSize: 0 bytes/workgroup (compile time only)
; SGPRBlocks: 0
; VGPRBlocks: 0
; NumSGPRsForWavesPerEU: 18
; NumVGPRsForWavesPerEU: 8
; NamedBarCnt: 0
; Occupancy: 16
; WaveLimiterHint : 1
; COMPUTE_PGM_RSRC2:SCRATCH_EN: 0
; COMPUTE_PGM_RSRC2:USER_SGPR: 2
; COMPUTE_PGM_RSRC2:TRAP_HANDLER: 0
; COMPUTE_PGM_RSRC2:TGID_X_EN: 1
; COMPUTE_PGM_RSRC2:TGID_Y_EN: 0
; COMPUTE_PGM_RSRC2:TGID_Z_EN: 0
; COMPUTE_PGM_RSRC2:TIDIG_COMP_CNT: 0
	.section	.text._ZN9rocsparseL19coomvn_atomic_loopsILj256ELj1EiffffEEvlNS_24const_host_device_scalarIT5_EEPKT1_S6_PKT2_PKT3_PT4_21rocsparse_index_base_b,"axG",@progbits,_ZN9rocsparseL19coomvn_atomic_loopsILj256ELj1EiffffEEvlNS_24const_host_device_scalarIT5_EEPKT1_S6_PKT2_PKT3_PT4_21rocsparse_index_base_b,comdat
	.globl	_ZN9rocsparseL19coomvn_atomic_loopsILj256ELj1EiffffEEvlNS_24const_host_device_scalarIT5_EEPKT1_S6_PKT2_PKT3_PT4_21rocsparse_index_base_b ; -- Begin function _ZN9rocsparseL19coomvn_atomic_loopsILj256ELj1EiffffEEvlNS_24const_host_device_scalarIT5_EEPKT1_S6_PKT2_PKT3_PT4_21rocsparse_index_base_b
	.p2align	8
	.type	_ZN9rocsparseL19coomvn_atomic_loopsILj256ELj1EiffffEEvlNS_24const_host_device_scalarIT5_EEPKT1_S6_PKT2_PKT3_PT4_21rocsparse_index_base_b,@function
_ZN9rocsparseL19coomvn_atomic_loopsILj256ELj1EiffffEEvlNS_24const_host_device_scalarIT5_EEPKT1_S6_PKT2_PKT3_PT4_21rocsparse_index_base_b: ; @_ZN9rocsparseL19coomvn_atomic_loopsILj256ELj1EiffffEEvlNS_24const_host_device_scalarIT5_EEPKT1_S6_PKT2_PKT3_PT4_21rocsparse_index_base_b
; %bb.0:
	s_clause 0x1
	s_load_b64 s[2:3], s[0:1], 0x38
	s_load_b128 s[4:7], s[0:1], 0x0
	s_wait_kmcnt 0x0
	s_bitcmp1_b32 s3, 0
	s_cselect_b32 s3, -1, 0
	s_delay_alu instid0(SALU_CYCLE_1)
	s_and_b32 vcc_lo, exec_lo, s3
	s_cbranch_vccnz .LBB5_2
; %bb.1:
	s_load_b32 s6, s[6:7], 0x0
.LBB5_2:
	s_wait_kmcnt 0x0
	s_cmp_eq_f32 s6, 0
	s_cbranch_scc1 .LBB5_42
; %bb.3:
	s_bfe_u32 s3, ttmp6, 0x4000c
	s_and_b32 s7, ttmp6, 15
	s_add_co_i32 s3, s3, 1
	s_getreg_b32 s8, hwreg(HW_REG_IB_STS2, 6, 4)
	s_mul_i32 s3, ttmp9, s3
	v_dual_mov_b32 v3, 0 :: v_dual_mov_b32 v1, -1
	s_add_co_i32 s7, s7, s3
	s_cmp_eq_u32 s8, 0
	s_cselect_b32 s3, ttmp9, s7
	s_delay_alu instid0(SALU_CYCLE_1) | instskip(SKIP_1) | instid1(VALU_DEP_1)
	v_lshl_or_b32 v2, s3, 8, v0
	s_mov_b32 s3, exec_lo
	v_cmpx_gt_i64_e64 s[4:5], v[2:3]
	s_cbranch_execz .LBB5_5
; %bb.4:
	s_load_b256 s[8:15], s[0:1], 0x10
	v_lshlrev_b64_e32 v[2:3], 2, v[2:3]
	s_wait_kmcnt 0x0
	s_delay_alu instid0(VALU_DEP_1)
	v_add_nc_u64_e32 v[4:5], s[10:11], v[2:3]
	global_load_b32 v1, v[4:5], off th:TH_LOAD_NT
	s_wait_xcnt 0x0
	v_add_nc_u64_e32 v[4:5], s[8:9], v[2:3]
	v_add_nc_u64_e32 v[2:3], s[12:13], v[2:3]
	s_wait_loadcnt 0x0
	v_subrev_nc_u32_e32 v1, s2, v1
	global_load_b32 v6, v[4:5], off th:TH_LOAD_NT
	global_load_b32 v7, v[2:3], off th:TH_LOAD_NT
	global_load_b32 v8, v1, s[14:15] scale_offset
	s_wait_loadcnt 0x2
	s_wait_xcnt 0x0
	v_subrev_nc_u32_e32 v1, s2, v6
	s_wait_loadcnt 0x0
	v_mul_f32_e32 v3, v7, v8
.LBB5_5:
	s_or_b32 exec_lo, exec_lo, s3
	v_lshlrev_b32_e32 v2, 2, v0
	s_mov_b32 s2, exec_lo
	s_delay_alu instid0(VALU_DEP_1)
	v_or_b32_e32 v4, 0x400, v2
	ds_store_2addr_stride64_b32 v2, v1, v3 offset1:4
	s_wait_dscnt 0x0
	s_barrier_signal -1
	s_barrier_wait -1
	v_cmpx_ne_u32_e32 0, v0
	s_cbranch_execz .LBB5_9
; %bb.6:
	v_add_nc_u32_e32 v5, -4, v2
	s_mov_b32 s3, exec_lo
	ds_load_b32 v5, v5
	s_wait_dscnt 0x0
	v_cmpx_eq_u32_e64 v1, v5
	s_cbranch_execz .LBB5_8
; %bb.7:
	v_add_nc_u32_e32 v5, -4, v4
	ds_load_b32 v5, v5
	s_wait_dscnt 0x0
	v_add_f32_e32 v3, v3, v5
.LBB5_8:
	s_or_b32 exec_lo, exec_lo, s3
.LBB5_9:
	s_delay_alu instid0(SALU_CYCLE_1) | instskip(NEXT) | instid1(SALU_CYCLE_1)
	s_or_b32 exec_lo, exec_lo, s2
	s_mov_b32 s2, exec_lo
	s_barrier_signal -1
	s_barrier_wait -1
	ds_store_b32 v4, v3
	s_wait_dscnt 0x0
	s_barrier_signal -1
	s_barrier_wait -1
	v_cmpx_lt_u32_e32 1, v0
	s_cbranch_execz .LBB5_13
; %bb.10:
	v_add_nc_u32_e32 v5, -8, v2
	s_mov_b32 s3, exec_lo
	ds_load_b32 v5, v5
	s_wait_dscnt 0x0
	v_cmpx_eq_u32_e64 v1, v5
	s_cbranch_execz .LBB5_12
; %bb.11:
	v_add_nc_u32_e32 v5, -8, v4
	ds_load_b32 v5, v5
	s_wait_dscnt 0x0
	v_add_f32_e32 v3, v3, v5
.LBB5_12:
	s_or_b32 exec_lo, exec_lo, s3
.LBB5_13:
	s_delay_alu instid0(SALU_CYCLE_1) | instskip(NEXT) | instid1(SALU_CYCLE_1)
	s_or_b32 exec_lo, exec_lo, s2
	s_mov_b32 s2, exec_lo
	s_barrier_signal -1
	s_barrier_wait -1
	ds_store_b32 v4, v3
	s_wait_dscnt 0x0
	s_barrier_signal -1
	s_barrier_wait -1
	v_cmpx_lt_u32_e32 3, v0
	;; [unrolled: 26-line block ×3, first 2 shown]
	s_cbranch_execz .LBB5_21
; %bb.18:
	v_subrev_nc_u32_e32 v5, 32, v2
	s_mov_b32 s3, exec_lo
	ds_load_b32 v5, v5
	s_wait_dscnt 0x0
	v_cmpx_eq_u32_e64 v1, v5
	s_cbranch_execz .LBB5_20
; %bb.19:
	v_subrev_nc_u32_e32 v5, 32, v4
	ds_load_b32 v5, v5
	s_wait_dscnt 0x0
	v_add_f32_e32 v3, v3, v5
.LBB5_20:
	s_or_b32 exec_lo, exec_lo, s3
.LBB5_21:
	s_delay_alu instid0(SALU_CYCLE_1) | instskip(NEXT) | instid1(SALU_CYCLE_1)
	s_or_b32 exec_lo, exec_lo, s2
	s_mov_b32 s2, exec_lo
	s_barrier_signal -1
	s_barrier_wait -1
	ds_store_b32 v4, v3
	s_wait_dscnt 0x0
	s_barrier_signal -1
	s_barrier_wait -1
	v_cmpx_lt_u32_e32 15, v0
	s_cbranch_execz .LBB5_25
; %bb.22:
	v_subrev_nc_u32_e32 v5, 64, v2
	s_mov_b32 s3, exec_lo
	ds_load_b32 v5, v5
	s_wait_dscnt 0x0
	v_cmpx_eq_u32_e64 v1, v5
	s_cbranch_execz .LBB5_24
; %bb.23:
	v_subrev_nc_u32_e32 v5, 64, v4
	ds_load_b32 v5, v5
	s_wait_dscnt 0x0
	v_add_f32_e32 v3, v3, v5
.LBB5_24:
	s_or_b32 exec_lo, exec_lo, s3
.LBB5_25:
	s_delay_alu instid0(SALU_CYCLE_1) | instskip(NEXT) | instid1(SALU_CYCLE_1)
	s_or_b32 exec_lo, exec_lo, s2
	s_mov_b32 s2, exec_lo
	s_barrier_signal -1
	s_barrier_wait -1
	ds_store_b32 v4, v3
	s_wait_dscnt 0x0
	s_barrier_signal -1
	s_barrier_wait -1
	v_cmpx_lt_u32_e32 31, v0
	s_cbranch_execz .LBB5_29
; %bb.26:
	v_add_nc_u32_e32 v5, 0xffffff80, v2
	s_mov_b32 s3, exec_lo
	ds_load_b32 v5, v5
	s_wait_dscnt 0x0
	v_cmpx_eq_u32_e64 v1, v5
	s_cbranch_execz .LBB5_28
; %bb.27:
	v_add_nc_u32_e32 v5, 0xffffff80, v4
	ds_load_b32 v5, v5
	s_wait_dscnt 0x0
	v_add_f32_e32 v3, v3, v5
.LBB5_28:
	s_or_b32 exec_lo, exec_lo, s3
.LBB5_29:
	s_delay_alu instid0(SALU_CYCLE_1) | instskip(NEXT) | instid1(SALU_CYCLE_1)
	s_or_b32 exec_lo, exec_lo, s2
	s_mov_b32 s2, exec_lo
	s_barrier_signal -1
	s_barrier_wait -1
	ds_store_b32 v4, v3
	s_wait_dscnt 0x0
	s_barrier_signal -1
	s_barrier_wait -1
	v_cmpx_lt_u32_e32 63, v0
	s_cbranch_execz .LBB5_33
; %bb.30:
	v_add_nc_u32_e32 v5, 0xffffff00, v2
	s_mov_b32 s3, exec_lo
	ds_load_b32 v5, v5
	s_wait_dscnt 0x0
	v_cmpx_eq_u32_e64 v1, v5
	s_cbranch_execz .LBB5_32
; %bb.31:
	v_add_nc_u32_e32 v5, 0xffffff00, v4
	ds_load_b32 v5, v5
	s_wait_dscnt 0x0
	v_add_f32_e32 v3, v3, v5
.LBB5_32:
	s_or_b32 exec_lo, exec_lo, s3
.LBB5_33:
	s_delay_alu instid0(SALU_CYCLE_1)
	s_or_b32 exec_lo, exec_lo, s2
	s_load_b64 s[2:3], s[0:1], 0x30
	s_wait_xcnt 0x0
	s_mov_b32 s0, exec_lo
	s_barrier_signal -1
	s_barrier_wait -1
	ds_store_b32 v4, v3
	s_wait_dscnt 0x0
	s_barrier_signal -1
	s_barrier_wait -1
	v_cmpx_lt_u32_e32 0x7f, v0
	s_cbranch_execz .LBB5_37
; %bb.34:
	v_add_nc_u32_e32 v5, 0xfffffe00, v2
	s_mov_b32 s1, exec_lo
	ds_load_b32 v5, v5
	s_wait_dscnt 0x0
	v_cmpx_eq_u32_e64 v1, v5
	s_cbranch_execz .LBB5_36
; %bb.35:
	v_add_nc_u32_e32 v5, 0xfffffe00, v4
	ds_load_b32 v5, v5
	s_wait_dscnt 0x0
	v_add_f32_e32 v3, v3, v5
.LBB5_36:
	s_or_b32 exec_lo, exec_lo, s1
.LBB5_37:
	s_delay_alu instid0(SALU_CYCLE_1) | instskip(NEXT) | instid1(SALU_CYCLE_1)
	s_or_b32 exec_lo, exec_lo, s0
	s_mov_b32 s1, exec_lo
	s_barrier_signal -1
	s_barrier_wait -1
	ds_store_b32 v4, v3
	s_wait_dscnt 0x0
	s_barrier_signal -1
	s_barrier_wait -1
	v_cmpx_gt_u32_e32 0xff, v0
	s_cbranch_execz .LBB5_40
; %bb.38:
	ds_load_b32 v2, v2 offset:4
	v_cmp_lt_i32_e64 s0, -1, v1
	s_wait_dscnt 0x0
	v_cmp_ne_u32_e32 vcc_lo, v1, v2
	s_and_b32 s0, s0, vcc_lo
	s_delay_alu instid0(SALU_CYCLE_1)
	s_and_b32 exec_lo, exec_lo, s0
	s_cbranch_execz .LBB5_40
; %bb.39:
	v_mul_f32_e32 v2, s6, v3
	s_wait_kmcnt 0x0
	global_atomic_add_f32 v1, v2, s[2:3] scale_offset scope:SCOPE_DEV
.LBB5_40:
	s_wait_xcnt 0x0
	s_or_b32 exec_lo, exec_lo, s1
	v_cmp_eq_u32_e32 vcc_lo, 0xff, v0
	v_cmp_lt_i32_e64 s0, -1, v1
	s_and_b32 s0, vcc_lo, s0
	s_delay_alu instid0(SALU_CYCLE_1)
	s_and_saveexec_b32 s1, s0
	s_cbranch_execz .LBB5_42
; %bb.41:
	v_mul_f32_e32 v0, s6, v3
	s_wait_kmcnt 0x0
	global_atomic_add_f32 v1, v0, s[2:3] scale_offset scope:SCOPE_DEV
.LBB5_42:
	s_endpgm
	.section	.rodata,"a",@progbits
	.p2align	6, 0x0
	.amdhsa_kernel _ZN9rocsparseL19coomvn_atomic_loopsILj256ELj1EiffffEEvlNS_24const_host_device_scalarIT5_EEPKT1_S6_PKT2_PKT3_PT4_21rocsparse_index_base_b
		.amdhsa_group_segment_fixed_size 2048
		.amdhsa_private_segment_fixed_size 0
		.amdhsa_kernarg_size 64
		.amdhsa_user_sgpr_count 2
		.amdhsa_user_sgpr_dispatch_ptr 0
		.amdhsa_user_sgpr_queue_ptr 0
		.amdhsa_user_sgpr_kernarg_segment_ptr 1
		.amdhsa_user_sgpr_dispatch_id 0
		.amdhsa_user_sgpr_kernarg_preload_length 0
		.amdhsa_user_sgpr_kernarg_preload_offset 0
		.amdhsa_user_sgpr_private_segment_size 0
		.amdhsa_wavefront_size32 1
		.amdhsa_uses_dynamic_stack 0
		.amdhsa_enable_private_segment 0
		.amdhsa_system_sgpr_workgroup_id_x 1
		.amdhsa_system_sgpr_workgroup_id_y 0
		.amdhsa_system_sgpr_workgroup_id_z 0
		.amdhsa_system_sgpr_workgroup_info 0
		.amdhsa_system_vgpr_workitem_id 0
		.amdhsa_next_free_vgpr 9
		.amdhsa_next_free_sgpr 16
		.amdhsa_named_barrier_count 0
		.amdhsa_reserve_vcc 1
		.amdhsa_float_round_mode_32 0
		.amdhsa_float_round_mode_16_64 0
		.amdhsa_float_denorm_mode_32 3
		.amdhsa_float_denorm_mode_16_64 3
		.amdhsa_fp16_overflow 0
		.amdhsa_memory_ordered 1
		.amdhsa_forward_progress 1
		.amdhsa_inst_pref_size 11
		.amdhsa_round_robin_scheduling 0
		.amdhsa_exception_fp_ieee_invalid_op 0
		.amdhsa_exception_fp_denorm_src 0
		.amdhsa_exception_fp_ieee_div_zero 0
		.amdhsa_exception_fp_ieee_overflow 0
		.amdhsa_exception_fp_ieee_underflow 0
		.amdhsa_exception_fp_ieee_inexact 0
		.amdhsa_exception_int_div_zero 0
	.end_amdhsa_kernel
	.section	.text._ZN9rocsparseL19coomvn_atomic_loopsILj256ELj1EiffffEEvlNS_24const_host_device_scalarIT5_EEPKT1_S6_PKT2_PKT3_PT4_21rocsparse_index_base_b,"axG",@progbits,_ZN9rocsparseL19coomvn_atomic_loopsILj256ELj1EiffffEEvlNS_24const_host_device_scalarIT5_EEPKT1_S6_PKT2_PKT3_PT4_21rocsparse_index_base_b,comdat
.Lfunc_end5:
	.size	_ZN9rocsparseL19coomvn_atomic_loopsILj256ELj1EiffffEEvlNS_24const_host_device_scalarIT5_EEPKT1_S6_PKT2_PKT3_PT4_21rocsparse_index_base_b, .Lfunc_end5-_ZN9rocsparseL19coomvn_atomic_loopsILj256ELj1EiffffEEvlNS_24const_host_device_scalarIT5_EEPKT1_S6_PKT2_PKT3_PT4_21rocsparse_index_base_b
                                        ; -- End function
	.set _ZN9rocsparseL19coomvn_atomic_loopsILj256ELj1EiffffEEvlNS_24const_host_device_scalarIT5_EEPKT1_S6_PKT2_PKT3_PT4_21rocsparse_index_base_b.num_vgpr, 9
	.set _ZN9rocsparseL19coomvn_atomic_loopsILj256ELj1EiffffEEvlNS_24const_host_device_scalarIT5_EEPKT1_S6_PKT2_PKT3_PT4_21rocsparse_index_base_b.num_agpr, 0
	.set _ZN9rocsparseL19coomvn_atomic_loopsILj256ELj1EiffffEEvlNS_24const_host_device_scalarIT5_EEPKT1_S6_PKT2_PKT3_PT4_21rocsparse_index_base_b.numbered_sgpr, 16
	.set _ZN9rocsparseL19coomvn_atomic_loopsILj256ELj1EiffffEEvlNS_24const_host_device_scalarIT5_EEPKT1_S6_PKT2_PKT3_PT4_21rocsparse_index_base_b.num_named_barrier, 0
	.set _ZN9rocsparseL19coomvn_atomic_loopsILj256ELj1EiffffEEvlNS_24const_host_device_scalarIT5_EEPKT1_S6_PKT2_PKT3_PT4_21rocsparse_index_base_b.private_seg_size, 0
	.set _ZN9rocsparseL19coomvn_atomic_loopsILj256ELj1EiffffEEvlNS_24const_host_device_scalarIT5_EEPKT1_S6_PKT2_PKT3_PT4_21rocsparse_index_base_b.uses_vcc, 1
	.set _ZN9rocsparseL19coomvn_atomic_loopsILj256ELj1EiffffEEvlNS_24const_host_device_scalarIT5_EEPKT1_S6_PKT2_PKT3_PT4_21rocsparse_index_base_b.uses_flat_scratch, 0
	.set _ZN9rocsparseL19coomvn_atomic_loopsILj256ELj1EiffffEEvlNS_24const_host_device_scalarIT5_EEPKT1_S6_PKT2_PKT3_PT4_21rocsparse_index_base_b.has_dyn_sized_stack, 0
	.set _ZN9rocsparseL19coomvn_atomic_loopsILj256ELj1EiffffEEvlNS_24const_host_device_scalarIT5_EEPKT1_S6_PKT2_PKT3_PT4_21rocsparse_index_base_b.has_recursion, 0
	.set _ZN9rocsparseL19coomvn_atomic_loopsILj256ELj1EiffffEEvlNS_24const_host_device_scalarIT5_EEPKT1_S6_PKT2_PKT3_PT4_21rocsparse_index_base_b.has_indirect_call, 0
	.section	.AMDGPU.csdata,"",@progbits
; Kernel info:
; codeLenInByte = 1304
; TotalNumSgprs: 18
; NumVgprs: 9
; ScratchSize: 0
; MemoryBound: 0
; FloatMode: 240
; IeeeMode: 1
; LDSByteSize: 2048 bytes/workgroup (compile time only)
; SGPRBlocks: 0
; VGPRBlocks: 0
; NumSGPRsForWavesPerEU: 18
; NumVGPRsForWavesPerEU: 9
; NamedBarCnt: 0
; Occupancy: 16
; WaveLimiterHint : 1
; COMPUTE_PGM_RSRC2:SCRATCH_EN: 0
; COMPUTE_PGM_RSRC2:USER_SGPR: 2
; COMPUTE_PGM_RSRC2:TRAP_HANDLER: 0
; COMPUTE_PGM_RSRC2:TGID_X_EN: 1
; COMPUTE_PGM_RSRC2:TGID_Y_EN: 0
; COMPUTE_PGM_RSRC2:TGID_Z_EN: 0
; COMPUTE_PGM_RSRC2:TIDIG_COMP_CNT: 0
	.section	.text._ZN9rocsparseL19coomvn_atomic_loopsILj256ELj2EiffffEEvlNS_24const_host_device_scalarIT5_EEPKT1_S6_PKT2_PKT3_PT4_21rocsparse_index_base_b,"axG",@progbits,_ZN9rocsparseL19coomvn_atomic_loopsILj256ELj2EiffffEEvlNS_24const_host_device_scalarIT5_EEPKT1_S6_PKT2_PKT3_PT4_21rocsparse_index_base_b,comdat
	.globl	_ZN9rocsparseL19coomvn_atomic_loopsILj256ELj2EiffffEEvlNS_24const_host_device_scalarIT5_EEPKT1_S6_PKT2_PKT3_PT4_21rocsparse_index_base_b ; -- Begin function _ZN9rocsparseL19coomvn_atomic_loopsILj256ELj2EiffffEEvlNS_24const_host_device_scalarIT5_EEPKT1_S6_PKT2_PKT3_PT4_21rocsparse_index_base_b
	.p2align	8
	.type	_ZN9rocsparseL19coomvn_atomic_loopsILj256ELj2EiffffEEvlNS_24const_host_device_scalarIT5_EEPKT1_S6_PKT2_PKT3_PT4_21rocsparse_index_base_b,@function
_ZN9rocsparseL19coomvn_atomic_loopsILj256ELj2EiffffEEvlNS_24const_host_device_scalarIT5_EEPKT1_S6_PKT2_PKT3_PT4_21rocsparse_index_base_b: ; @_ZN9rocsparseL19coomvn_atomic_loopsILj256ELj2EiffffEEvlNS_24const_host_device_scalarIT5_EEPKT1_S6_PKT2_PKT3_PT4_21rocsparse_index_base_b
; %bb.0:
	s_clause 0x1
	s_load_b64 s[26:27], s[0:1], 0x38
	s_load_b128 s[20:23], s[0:1], 0x0
	s_wait_kmcnt 0x0
	s_bitcmp1_b32 s27, 0
	s_cselect_b32 s2, -1, 0
	s_delay_alu instid0(SALU_CYCLE_1)
	s_and_b32 vcc_lo, exec_lo, s2
	s_cbranch_vccnz .LBB6_2
; %bb.1:
	s_load_b32 s22, s[22:23], 0x0
.LBB6_2:
	s_wait_kmcnt 0x0
	s_cmp_eq_f32 s22, 0
	s_cbranch_scc1 .LBB6_88
; %bb.3:
	s_bfe_u32 s2, ttmp6, 0x4000c
	s_load_b256 s[12:19], s[0:1], 0x10
	s_add_co_i32 s2, s2, 1
	s_and_b32 s3, ttmp6, 15
	s_mul_i32 s2, ttmp9, s2
	s_getreg_b32 s4, hwreg(HW_REG_IB_STS2, 6, 4)
	s_add_co_i32 s3, s3, s2
	s_cmp_eq_u32 s4, 0
	v_dual_mov_b32 v5, 0 :: v_dual_mov_b32 v15, -1
	s_cselect_b32 s2, ttmp9, s3
	s_delay_alu instid0(SALU_CYCLE_1) | instskip(NEXT) | instid1(VALU_DEP_2)
	v_lshl_or_b32 v4, s2, 9, v0
	v_mov_b32_e32 v16, v5
	s_mov_b32 s2, exec_lo
	s_delay_alu instid0(VALU_DEP_2)
	v_lshlrev_b64_e32 v[2:3], 2, v[4:5]
	v_cmpx_gt_i64_e64 s[20:21], v[4:5]
	s_cbranch_execz .LBB6_5
; %bb.4:
	s_wait_kmcnt 0x0
	s_delay_alu instid0(VALU_DEP_2)
	v_add_nc_u64_e32 v[6:7], s[14:15], v[2:3]
	v_add_nc_u64_e32 v[8:9], s[16:17], v[2:3]
	global_load_b32 v1, v[6:7], off th:TH_LOAD_NT
	s_wait_xcnt 0x0
	v_add_nc_u64_e32 v[6:7], s[12:13], v[2:3]
	s_wait_loadcnt 0x0
	v_subrev_nc_u32_e32 v1, s26, v1
	global_load_b32 v10, v[6:7], off th:TH_LOAD_NT
	global_load_b32 v11, v[8:9], off th:TH_LOAD_NT
	global_load_b32 v12, v1, s[18:19] scale_offset
	s_wait_loadcnt 0x2
	v_subrev_nc_u32_e32 v15, s26, v10
	s_wait_loadcnt 0x0
	v_mul_f32_e32 v16, v11, v12
.LBB6_5:
	s_or_b32 exec_lo, exec_lo, s2
	v_lshlrev_b32_e32 v1, 2, v0
	v_cmp_ne_u32_e64 s2, 0, v0
	v_cmp_eq_u32_e32 vcc_lo, 0, v0
	s_delay_alu instid0(VALU_DEP_3)
	v_or_b32_e32 v6, 0x400, v1
	v_add_nc_u32_e32 v7, -4, v1
	ds_store_2addr_stride64_b32 v1, v15, v16 offset1:4
	s_wait_dscnt 0x0
	s_barrier_signal -1
	s_barrier_wait -1
	s_and_saveexec_b32 s4, s2
	s_cbranch_execz .LBB6_9
; %bb.6:
	ds_load_b32 v8, v7
	s_mov_b32 s5, exec_lo
	s_wait_dscnt 0x0
	v_cmpx_eq_u32_e64 v15, v8
	s_cbranch_execz .LBB6_8
; %bb.7:
	v_add_nc_u32_e32 v8, -4, v6
	ds_load_b32 v8, v8
	s_wait_dscnt 0x0
	v_add_f32_e32 v16, v16, v8
.LBB6_8:
	s_or_b32 exec_lo, exec_lo, s5
.LBB6_9:
	s_delay_alu instid0(SALU_CYCLE_1)
	s_or_b32 exec_lo, exec_lo, s4
	v_cmp_lt_u32_e64 s3, 1, v0
	v_add_nc_u32_e32 v8, -8, v1
	s_barrier_signal -1
	s_barrier_wait -1
	ds_store_b32 v6, v16
	s_wait_dscnt 0x0
	s_barrier_signal -1
	s_barrier_wait -1
	s_and_saveexec_b32 s5, s3
	s_cbranch_execz .LBB6_13
; %bb.10:
	ds_load_b32 v9, v8
	s_mov_b32 s6, exec_lo
	s_wait_dscnt 0x0
	v_cmpx_eq_u32_e64 v15, v9
	s_cbranch_execz .LBB6_12
; %bb.11:
	v_add_nc_u32_e32 v9, -8, v6
	ds_load_b32 v9, v9
	s_wait_dscnt 0x0
	v_add_f32_e32 v16, v16, v9
.LBB6_12:
	s_or_b32 exec_lo, exec_lo, s6
.LBB6_13:
	s_delay_alu instid0(SALU_CYCLE_1)
	s_or_b32 exec_lo, exec_lo, s5
	v_cmp_lt_u32_e64 s4, 3, v0
	v_add_nc_u32_e32 v9, -16, v1
	s_barrier_signal -1
	s_barrier_wait -1
	ds_store_b32 v6, v16
	s_wait_dscnt 0x0
	s_barrier_signal -1
	s_barrier_wait -1
	s_and_saveexec_b32 s6, s4
	s_cbranch_execz .LBB6_17
; %bb.14:
	ds_load_b32 v10, v9
	s_mov_b32 s7, exec_lo
	s_wait_dscnt 0x0
	v_cmpx_eq_u32_e64 v15, v10
	s_cbranch_execz .LBB6_16
; %bb.15:
	v_add_nc_u32_e32 v10, -16, v6
	ds_load_b32 v10, v10
	s_wait_dscnt 0x0
	v_add_f32_e32 v16, v16, v10
.LBB6_16:
	s_or_b32 exec_lo, exec_lo, s7
.LBB6_17:
	s_delay_alu instid0(SALU_CYCLE_1)
	s_or_b32 exec_lo, exec_lo, s6
	v_cmp_lt_u32_e64 s5, 7, v0
	v_subrev_nc_u32_e32 v10, 32, v1
	s_barrier_signal -1
	s_barrier_wait -1
	ds_store_b32 v6, v16
	s_wait_dscnt 0x0
	s_barrier_signal -1
	s_barrier_wait -1
	s_and_saveexec_b32 s7, s5
	s_cbranch_execz .LBB6_21
; %bb.18:
	ds_load_b32 v11, v10
	s_mov_b32 s8, exec_lo
	s_wait_dscnt 0x0
	v_cmpx_eq_u32_e64 v15, v11
	s_cbranch_execz .LBB6_20
; %bb.19:
	v_subrev_nc_u32_e32 v11, 32, v6
	ds_load_b32 v11, v11
	s_wait_dscnt 0x0
	v_add_f32_e32 v16, v16, v11
.LBB6_20:
	s_or_b32 exec_lo, exec_lo, s8
.LBB6_21:
	s_delay_alu instid0(SALU_CYCLE_1)
	s_or_b32 exec_lo, exec_lo, s7
	v_cmp_lt_u32_e64 s6, 15, v0
	v_subrev_nc_u32_e32 v11, 64, v1
	s_barrier_signal -1
	s_barrier_wait -1
	ds_store_b32 v6, v16
	s_wait_dscnt 0x0
	s_barrier_signal -1
	s_barrier_wait -1
	s_and_saveexec_b32 s8, s6
	s_cbranch_execz .LBB6_25
; %bb.22:
	ds_load_b32 v12, v11
	s_mov_b32 s9, exec_lo
	s_wait_dscnt 0x0
	v_cmpx_eq_u32_e64 v15, v12
	s_cbranch_execz .LBB6_24
; %bb.23:
	v_subrev_nc_u32_e32 v12, 64, v6
	ds_load_b32 v12, v12
	s_wait_dscnt 0x0
	v_add_f32_e32 v16, v16, v12
.LBB6_24:
	s_or_b32 exec_lo, exec_lo, s9
.LBB6_25:
	s_delay_alu instid0(SALU_CYCLE_1)
	s_or_b32 exec_lo, exec_lo, s8
	v_cmp_lt_u32_e64 s7, 31, v0
	v_add_nc_u32_e32 v12, 0xffffff80, v1
	s_barrier_signal -1
	s_barrier_wait -1
	ds_store_b32 v6, v16
	s_wait_dscnt 0x0
	s_barrier_signal -1
	s_barrier_wait -1
	s_and_saveexec_b32 s9, s7
	s_cbranch_execz .LBB6_29
; %bb.26:
	ds_load_b32 v13, v12
	s_mov_b32 s10, exec_lo
	s_wait_dscnt 0x0
	v_cmpx_eq_u32_e64 v15, v13
	s_cbranch_execz .LBB6_28
; %bb.27:
	v_add_nc_u32_e32 v13, 0xffffff80, v6
	ds_load_b32 v13, v13
	s_wait_dscnt 0x0
	v_add_f32_e32 v16, v16, v13
.LBB6_28:
	s_or_b32 exec_lo, exec_lo, s10
.LBB6_29:
	s_delay_alu instid0(SALU_CYCLE_1)
	s_or_b32 exec_lo, exec_lo, s9
	v_cmp_lt_u32_e64 s8, 63, v0
	v_add_nc_u32_e32 v13, 0xffffff00, v1
	s_barrier_signal -1
	s_barrier_wait -1
	ds_store_b32 v6, v16
	s_wait_dscnt 0x0
	s_barrier_signal -1
	s_barrier_wait -1
	s_and_saveexec_b32 s10, s8
	s_cbranch_execz .LBB6_33
; %bb.30:
	ds_load_b32 v14, v13
	s_mov_b32 s11, exec_lo
	s_wait_dscnt 0x0
	v_cmpx_eq_u32_e64 v15, v14
	s_cbranch_execz .LBB6_32
; %bb.31:
	v_add_nc_u32_e32 v14, 0xffffff00, v6
	ds_load_b32 v14, v14
	s_wait_dscnt 0x0
	v_add_f32_e32 v16, v16, v14
.LBB6_32:
	s_or_b32 exec_lo, exec_lo, s11
.LBB6_33:
	s_delay_alu instid0(SALU_CYCLE_1)
	s_or_b32 exec_lo, exec_lo, s10
	s_load_b64 s[24:25], s[0:1], 0x30
	s_wait_xcnt 0x0
	v_cmp_lt_u32_e64 s0, 0x7f, v0
	v_add_nc_u32_e32 v14, 0xfffffe00, v1
	s_barrier_signal -1
	s_barrier_wait -1
	ds_store_b32 v6, v16
	s_wait_dscnt 0x0
	s_barrier_signal -1
	s_barrier_wait -1
	s_and_saveexec_b32 s9, s0
	s_cbranch_execz .LBB6_37
; %bb.34:
	ds_load_b32 v17, v14
	s_mov_b32 s10, exec_lo
	s_wait_dscnt 0x0
	v_cmpx_eq_u32_e64 v15, v17
	s_cbranch_execz .LBB6_36
; %bb.35:
	v_add_nc_u32_e32 v17, 0xfffffe00, v6
	ds_load_b32 v17, v17
	s_wait_dscnt 0x0
	v_add_f32_e32 v16, v16, v17
.LBB6_36:
	s_or_b32 exec_lo, exec_lo, s10
.LBB6_37:
	s_delay_alu instid0(SALU_CYCLE_1)
	s_or_b32 exec_lo, exec_lo, s9
	v_cmp_gt_u32_e64 s1, 0xff, v0
	s_barrier_signal -1
	s_barrier_wait -1
	ds_store_b32 v6, v16
	s_wait_dscnt 0x0
	s_barrier_signal -1
	s_barrier_wait -1
	s_and_saveexec_b32 s11, s1
	s_cbranch_execz .LBB6_40
; %bb.38:
	ds_load_b32 v17, v1 offset:4
	v_cmp_lt_i32_e64 s10, -1, v15
	s_wait_dscnt 0x0
	v_cmp_ne_u32_e64 s9, v15, v17
	s_and_b32 s9, s10, s9
	s_delay_alu instid0(SALU_CYCLE_1)
	s_and_b32 exec_lo, exec_lo, s9
	s_cbranch_execz .LBB6_40
; %bb.39:
	v_mul_f32_e32 v16, s22, v16
	s_wait_kmcnt 0x0
	global_atomic_add_f32 v15, v16, s[24:25] scale_offset scope:SCOPE_DEV
.LBB6_40:
	s_wait_xcnt 0x0
	s_or_b32 exec_lo, exec_lo, s11
	v_add_nc_u64_e32 v[4:5], 0x100, v[4:5]
	s_delay_alu instid0(VALU_DEP_1)
	v_cmp_gt_i64_e64 s9, s[20:21], v[4:5]
	v_dual_mov_b32 v4, -1 :: v_dual_mov_b32 v5, 0
	s_and_saveexec_b32 s10, s9
	s_cbranch_execz .LBB6_42
; %bb.41:
	s_wait_kmcnt 0x0
	v_add_nc_u64_e32 v[4:5], s[14:15], v[2:3]
	global_load_b32 v15, v[4:5], off offset:1024 th:TH_LOAD_NT
	s_wait_xcnt 0x0
	v_add_nc_u64_e32 v[4:5], s[12:13], v[2:3]
	v_add_nc_u64_e32 v[2:3], s[16:17], v[2:3]
	s_wait_loadcnt 0x0
	v_subrev_nc_u32_e32 v15, s26, v15
	global_load_b32 v16, v[4:5], off offset:1024 th:TH_LOAD_NT
	global_load_b32 v17, v[2:3], off offset:1024 th:TH_LOAD_NT
	global_load_b32 v18, v15, s[18:19] scale_offset
	s_wait_loadcnt 0x2
	s_wait_xcnt 0x2
	v_subrev_nc_u32_e32 v4, s26, v16
	s_wait_loadcnt 0x0
	v_mul_f32_e32 v5, v17, v18
.LBB6_42:
	s_wait_xcnt 0x0
	s_or_b32 exec_lo, exec_lo, s10
	s_and_saveexec_b32 s9, vcc_lo
	s_cbranch_execz .LBB6_51
; %bb.43:
	v_mov_b32_e32 v2, 0
	s_mov_b32 s10, exec_lo
	ds_load_b32 v2, v2 offset:1020
	s_wait_dscnt 0x0
	v_cmpx_ne_u32_e64 v4, v2
	s_xor_b32 s10, exec_lo, s10
	s_cbranch_execz .LBB6_48
; %bb.44:
	v_cmp_gt_i32_e32 vcc_lo, 0, v2
	s_cbranch_vccnz .LBB6_48
; %bb.45:
	s_wait_kmcnt 0x0
	s_mov_b32 s12, exec_lo
	s_mov_b32 s11, exec_lo
	v_mbcnt_lo_u32_b32 v3, s12, 0
	s_delay_alu instid0(VALU_DEP_1)
	v_cmpx_eq_u32_e32 0, v3
	s_cbranch_execz .LBB6_47
; %bb.46:
	v_mov_b32_e32 v3, 0
	s_bcnt1_i32_b32 s12, s12
	s_delay_alu instid0(SALU_CYCLE_1) | instskip(SKIP_3) | instid1(VALU_DEP_1)
	v_cvt_f32_ubyte0_e32 v15, s12
	ds_load_b32 v3, v3 offset:2044
	s_wait_dscnt 0x0
	v_mul_f32_e32 v3, s22, v3
	v_mul_f32_e32 v3, v3, v15
	global_atomic_add_f32 v2, v3, s[24:25] scale_offset scope:SCOPE_DEV
.LBB6_47:
	s_wait_xcnt 0x0
	s_or_b32 exec_lo, exec_lo, s11
.LBB6_48:
	s_and_not1_saveexec_b32 s10, s10
	s_cbranch_execz .LBB6_50
; %bb.49:
	v_mov_b32_e32 v2, 0
	ds_load_b32 v2, v2 offset:2044
	s_wait_dscnt 0x0
	v_add_f32_e32 v5, v5, v2
.LBB6_50:
	s_or_b32 exec_lo, exec_lo, s10
.LBB6_51:
	s_delay_alu instid0(SALU_CYCLE_1)
	s_or_b32 exec_lo, exec_lo, s9
	s_wait_storecnt 0x0
	s_barrier_signal -1
	s_barrier_wait -1
	ds_store_b32 v1, v4
	ds_store_b32 v6, v5
	s_wait_dscnt 0x0
	s_barrier_signal -1
	s_barrier_wait -1
	s_and_saveexec_b32 s9, s2
	s_cbranch_execz .LBB6_55
; %bb.52:
	ds_load_b32 v2, v7
	s_mov_b32 s2, exec_lo
	s_wait_dscnt 0x0
	v_cmpx_eq_u32_e64 v4, v2
	s_cbranch_execz .LBB6_54
; %bb.53:
	v_add_nc_u32_e32 v2, -4, v6
	ds_load_b32 v2, v2
	s_wait_dscnt 0x0
	v_add_f32_e32 v5, v5, v2
.LBB6_54:
	s_or_b32 exec_lo, exec_lo, s2
.LBB6_55:
	s_delay_alu instid0(SALU_CYCLE_1)
	s_or_b32 exec_lo, exec_lo, s9
	s_barrier_signal -1
	s_barrier_wait -1
	ds_store_b32 v6, v5
	s_wait_dscnt 0x0
	s_barrier_signal -1
	s_barrier_wait -1
	s_and_saveexec_b32 s2, s3
	s_cbranch_execz .LBB6_59
; %bb.56:
	ds_load_b32 v2, v8
	s_mov_b32 s3, exec_lo
	s_wait_dscnt 0x0
	v_cmpx_eq_u32_e64 v4, v2
	s_cbranch_execz .LBB6_58
; %bb.57:
	v_add_nc_u32_e32 v2, -8, v6
	ds_load_b32 v2, v2
	s_wait_dscnt 0x0
	v_add_f32_e32 v5, v5, v2
.LBB6_58:
	s_or_b32 exec_lo, exec_lo, s3
.LBB6_59:
	s_delay_alu instid0(SALU_CYCLE_1)
	s_or_b32 exec_lo, exec_lo, s2
	s_barrier_signal -1
	s_barrier_wait -1
	;; [unrolled: 24-line block ×3, first 2 shown]
	ds_store_b32 v6, v5
	s_wait_dscnt 0x0
	s_barrier_signal -1
	s_barrier_wait -1
	s_and_saveexec_b32 s2, s5
	s_cbranch_execz .LBB6_67
; %bb.64:
	ds_load_b32 v2, v10
	s_mov_b32 s3, exec_lo
	s_wait_dscnt 0x0
	v_cmpx_eq_u32_e64 v4, v2
	s_cbranch_execz .LBB6_66
; %bb.65:
	v_subrev_nc_u32_e32 v2, 32, v6
	ds_load_b32 v2, v2
	s_wait_dscnt 0x0
	v_add_f32_e32 v5, v5, v2
.LBB6_66:
	s_or_b32 exec_lo, exec_lo, s3
.LBB6_67:
	s_delay_alu instid0(SALU_CYCLE_1)
	s_or_b32 exec_lo, exec_lo, s2
	s_barrier_signal -1
	s_barrier_wait -1
	ds_store_b32 v6, v5
	s_wait_dscnt 0x0
	s_barrier_signal -1
	s_barrier_wait -1
	s_and_saveexec_b32 s2, s6
	s_cbranch_execz .LBB6_71
; %bb.68:
	ds_load_b32 v2, v11
	s_mov_b32 s3, exec_lo
	s_wait_dscnt 0x0
	v_cmpx_eq_u32_e64 v4, v2
	s_cbranch_execz .LBB6_70
; %bb.69:
	v_subrev_nc_u32_e32 v2, 64, v6
	ds_load_b32 v2, v2
	s_wait_dscnt 0x0
	v_add_f32_e32 v5, v5, v2
.LBB6_70:
	s_or_b32 exec_lo, exec_lo, s3
.LBB6_71:
	s_delay_alu instid0(SALU_CYCLE_1)
	s_or_b32 exec_lo, exec_lo, s2
	s_barrier_signal -1
	s_barrier_wait -1
	ds_store_b32 v6, v5
	s_wait_dscnt 0x0
	s_barrier_signal -1
	s_barrier_wait -1
	s_and_saveexec_b32 s2, s7
	s_cbranch_execz .LBB6_75
; %bb.72:
	ds_load_b32 v2, v12
	s_mov_b32 s3, exec_lo
	s_wait_dscnt 0x0
	v_cmpx_eq_u32_e64 v4, v2
	s_cbranch_execz .LBB6_74
; %bb.73:
	v_add_nc_u32_e32 v2, 0xffffff80, v6
	ds_load_b32 v2, v2
	s_wait_dscnt 0x0
	v_add_f32_e32 v5, v5, v2
.LBB6_74:
	s_or_b32 exec_lo, exec_lo, s3
.LBB6_75:
	s_delay_alu instid0(SALU_CYCLE_1)
	s_or_b32 exec_lo, exec_lo, s2
	s_barrier_signal -1
	s_barrier_wait -1
	ds_store_b32 v6, v5
	s_wait_dscnt 0x0
	s_barrier_signal -1
	s_barrier_wait -1
	s_and_saveexec_b32 s2, s8
	s_cbranch_execz .LBB6_79
; %bb.76:
	ds_load_b32 v2, v13
	s_mov_b32 s3, exec_lo
	s_wait_dscnt 0x0
	v_cmpx_eq_u32_e64 v4, v2
	s_cbranch_execz .LBB6_78
; %bb.77:
	v_add_nc_u32_e32 v2, 0xffffff00, v6
	ds_load_b32 v2, v2
	s_wait_dscnt 0x0
	v_add_f32_e32 v5, v5, v2
.LBB6_78:
	s_or_b32 exec_lo, exec_lo, s3
.LBB6_79:
	;; [unrolled: 24-line block ×3, first 2 shown]
	s_delay_alu instid0(SALU_CYCLE_1)
	s_or_b32 exec_lo, exec_lo, s2
	s_barrier_signal -1
	s_barrier_wait -1
	ds_store_b32 v6, v5
	s_wait_dscnt 0x0
	s_barrier_signal -1
	s_barrier_wait -1
	s_and_saveexec_b32 s2, s1
	s_cbranch_execz .LBB6_86
; %bb.84:
	ds_load_b32 v1, v1 offset:4
	v_cmp_lt_i32_e64 s0, -1, v4
	s_wait_dscnt 0x0
	v_cmp_ne_u32_e32 vcc_lo, v4, v1
	s_and_b32 s0, s0, vcc_lo
	s_delay_alu instid0(SALU_CYCLE_1)
	s_and_b32 exec_lo, exec_lo, s0
	s_cbranch_execz .LBB6_86
; %bb.85:
	v_mul_f32_e32 v1, s22, v5
	s_wait_kmcnt 0x0
	global_atomic_add_f32 v4, v1, s[24:25] scale_offset scope:SCOPE_DEV
.LBB6_86:
	s_wait_xcnt 0x0
	s_or_b32 exec_lo, exec_lo, s2
	v_cmp_eq_u32_e32 vcc_lo, 0xff, v0
	v_cmp_lt_i32_e64 s0, -1, v4
	s_and_b32 s0, vcc_lo, s0
	s_delay_alu instid0(SALU_CYCLE_1)
	s_and_saveexec_b32 s1, s0
	s_cbranch_execz .LBB6_88
; %bb.87:
	v_mul_f32_e32 v0, s22, v5
	s_wait_kmcnt 0x0
	global_atomic_add_f32 v4, v0, s[24:25] scale_offset scope:SCOPE_DEV
.LBB6_88:
	s_endpgm
	.section	.rodata,"a",@progbits
	.p2align	6, 0x0
	.amdhsa_kernel _ZN9rocsparseL19coomvn_atomic_loopsILj256ELj2EiffffEEvlNS_24const_host_device_scalarIT5_EEPKT1_S6_PKT2_PKT3_PT4_21rocsparse_index_base_b
		.amdhsa_group_segment_fixed_size 2048
		.amdhsa_private_segment_fixed_size 0
		.amdhsa_kernarg_size 64
		.amdhsa_user_sgpr_count 2
		.amdhsa_user_sgpr_dispatch_ptr 0
		.amdhsa_user_sgpr_queue_ptr 0
		.amdhsa_user_sgpr_kernarg_segment_ptr 1
		.amdhsa_user_sgpr_dispatch_id 0
		.amdhsa_user_sgpr_kernarg_preload_length 0
		.amdhsa_user_sgpr_kernarg_preload_offset 0
		.amdhsa_user_sgpr_private_segment_size 0
		.amdhsa_wavefront_size32 1
		.amdhsa_uses_dynamic_stack 0
		.amdhsa_enable_private_segment 0
		.amdhsa_system_sgpr_workgroup_id_x 1
		.amdhsa_system_sgpr_workgroup_id_y 0
		.amdhsa_system_sgpr_workgroup_id_z 0
		.amdhsa_system_sgpr_workgroup_info 0
		.amdhsa_system_vgpr_workitem_id 0
		.amdhsa_next_free_vgpr 19
		.amdhsa_next_free_sgpr 28
		.amdhsa_named_barrier_count 0
		.amdhsa_reserve_vcc 1
		.amdhsa_float_round_mode_32 0
		.amdhsa_float_round_mode_16_64 0
		.amdhsa_float_denorm_mode_32 3
		.amdhsa_float_denorm_mode_16_64 3
		.amdhsa_fp16_overflow 0
		.amdhsa_memory_ordered 1
		.amdhsa_forward_progress 1
		.amdhsa_inst_pref_size 21
		.amdhsa_round_robin_scheduling 0
		.amdhsa_exception_fp_ieee_invalid_op 0
		.amdhsa_exception_fp_denorm_src 0
		.amdhsa_exception_fp_ieee_div_zero 0
		.amdhsa_exception_fp_ieee_overflow 0
		.amdhsa_exception_fp_ieee_underflow 0
		.amdhsa_exception_fp_ieee_inexact 0
		.amdhsa_exception_int_div_zero 0
	.end_amdhsa_kernel
	.section	.text._ZN9rocsparseL19coomvn_atomic_loopsILj256ELj2EiffffEEvlNS_24const_host_device_scalarIT5_EEPKT1_S6_PKT2_PKT3_PT4_21rocsparse_index_base_b,"axG",@progbits,_ZN9rocsparseL19coomvn_atomic_loopsILj256ELj2EiffffEEvlNS_24const_host_device_scalarIT5_EEPKT1_S6_PKT2_PKT3_PT4_21rocsparse_index_base_b,comdat
.Lfunc_end6:
	.size	_ZN9rocsparseL19coomvn_atomic_loopsILj256ELj2EiffffEEvlNS_24const_host_device_scalarIT5_EEPKT1_S6_PKT2_PKT3_PT4_21rocsparse_index_base_b, .Lfunc_end6-_ZN9rocsparseL19coomvn_atomic_loopsILj256ELj2EiffffEEvlNS_24const_host_device_scalarIT5_EEPKT1_S6_PKT2_PKT3_PT4_21rocsparse_index_base_b
                                        ; -- End function
	.set _ZN9rocsparseL19coomvn_atomic_loopsILj256ELj2EiffffEEvlNS_24const_host_device_scalarIT5_EEPKT1_S6_PKT2_PKT3_PT4_21rocsparse_index_base_b.num_vgpr, 19
	.set _ZN9rocsparseL19coomvn_atomic_loopsILj256ELj2EiffffEEvlNS_24const_host_device_scalarIT5_EEPKT1_S6_PKT2_PKT3_PT4_21rocsparse_index_base_b.num_agpr, 0
	.set _ZN9rocsparseL19coomvn_atomic_loopsILj256ELj2EiffffEEvlNS_24const_host_device_scalarIT5_EEPKT1_S6_PKT2_PKT3_PT4_21rocsparse_index_base_b.numbered_sgpr, 28
	.set _ZN9rocsparseL19coomvn_atomic_loopsILj256ELj2EiffffEEvlNS_24const_host_device_scalarIT5_EEPKT1_S6_PKT2_PKT3_PT4_21rocsparse_index_base_b.num_named_barrier, 0
	.set _ZN9rocsparseL19coomvn_atomic_loopsILj256ELj2EiffffEEvlNS_24const_host_device_scalarIT5_EEPKT1_S6_PKT2_PKT3_PT4_21rocsparse_index_base_b.private_seg_size, 0
	.set _ZN9rocsparseL19coomvn_atomic_loopsILj256ELj2EiffffEEvlNS_24const_host_device_scalarIT5_EEPKT1_S6_PKT2_PKT3_PT4_21rocsparse_index_base_b.uses_vcc, 1
	.set _ZN9rocsparseL19coomvn_atomic_loopsILj256ELj2EiffffEEvlNS_24const_host_device_scalarIT5_EEPKT1_S6_PKT2_PKT3_PT4_21rocsparse_index_base_b.uses_flat_scratch, 0
	.set _ZN9rocsparseL19coomvn_atomic_loopsILj256ELj2EiffffEEvlNS_24const_host_device_scalarIT5_EEPKT1_S6_PKT2_PKT3_PT4_21rocsparse_index_base_b.has_dyn_sized_stack, 0
	.set _ZN9rocsparseL19coomvn_atomic_loopsILj256ELj2EiffffEEvlNS_24const_host_device_scalarIT5_EEPKT1_S6_PKT2_PKT3_PT4_21rocsparse_index_base_b.has_recursion, 0
	.set _ZN9rocsparseL19coomvn_atomic_loopsILj256ELj2EiffffEEvlNS_24const_host_device_scalarIT5_EEPKT1_S6_PKT2_PKT3_PT4_21rocsparse_index_base_b.has_indirect_call, 0
	.section	.AMDGPU.csdata,"",@progbits
; Kernel info:
; codeLenInByte = 2568
; TotalNumSgprs: 30
; NumVgprs: 19
; ScratchSize: 0
; MemoryBound: 0
; FloatMode: 240
; IeeeMode: 1
; LDSByteSize: 2048 bytes/workgroup (compile time only)
; SGPRBlocks: 0
; VGPRBlocks: 1
; NumSGPRsForWavesPerEU: 30
; NumVGPRsForWavesPerEU: 19
; NamedBarCnt: 0
; Occupancy: 16
; WaveLimiterHint : 1
; COMPUTE_PGM_RSRC2:SCRATCH_EN: 0
; COMPUTE_PGM_RSRC2:USER_SGPR: 2
; COMPUTE_PGM_RSRC2:TRAP_HANDLER: 0
; COMPUTE_PGM_RSRC2:TGID_X_EN: 1
; COMPUTE_PGM_RSRC2:TGID_Y_EN: 0
; COMPUTE_PGM_RSRC2:TGID_Z_EN: 0
; COMPUTE_PGM_RSRC2:TIDIG_COMP_CNT: 0
	.section	.text._ZN9rocsparseL22coomvn_segmented_loopsILj256ElffffEEvlT0_NS_24const_host_device_scalarIT4_EEPKS1_S6_PKT1_PKT2_PT3_PS1_PS3_21rocsparse_index_base_b,"axG",@progbits,_ZN9rocsparseL22coomvn_segmented_loopsILj256ElffffEEvlT0_NS_24const_host_device_scalarIT4_EEPKS1_S6_PKT1_PKT2_PT3_PS1_PS3_21rocsparse_index_base_b,comdat
	.globl	_ZN9rocsparseL22coomvn_segmented_loopsILj256ElffffEEvlT0_NS_24const_host_device_scalarIT4_EEPKS1_S6_PKT1_PKT2_PT3_PS1_PS3_21rocsparse_index_base_b ; -- Begin function _ZN9rocsparseL22coomvn_segmented_loopsILj256ElffffEEvlT0_NS_24const_host_device_scalarIT4_EEPKS1_S6_PKT1_PKT2_PT3_PS1_PS3_21rocsparse_index_base_b
	.p2align	8
	.type	_ZN9rocsparseL22coomvn_segmented_loopsILj256ElffffEEvlT0_NS_24const_host_device_scalarIT4_EEPKS1_S6_PKT1_PKT2_PT3_PS1_PS3_21rocsparse_index_base_b,@function
_ZN9rocsparseL22coomvn_segmented_loopsILj256ElffffEEvlT0_NS_24const_host_device_scalarIT4_EEPKS1_S6_PKT1_PKT2_PT3_PS1_PS3_21rocsparse_index_base_b: ; @_ZN9rocsparseL22coomvn_segmented_loopsILj256ElffffEEvlT0_NS_24const_host_device_scalarIT4_EEPKS1_S6_PKT1_PKT2_PT3_PS1_PS3_21rocsparse_index_base_b
; %bb.0:
	s_clause 0x1
	s_load_b64 s[30:31], s[0:1], 0x50
	s_load_b64 s[14:15], s[0:1], 0x10
	s_wait_kmcnt 0x0
	s_bitcmp1_b32 s31, 0
	s_cselect_b32 s2, -1, 0
	s_delay_alu instid0(SALU_CYCLE_1)
	s_and_b32 vcc_lo, exec_lo, s2
	s_cbranch_vccnz .LBB7_2
; %bb.1:
	s_load_b32 s14, s[14:15], 0x0
.LBB7_2:
	s_wait_kmcnt 0x0
	s_cmp_eq_f32 s14, 0
	s_mov_b32 s29, 0
	s_cbranch_scc1 .LBB7_89
; %bb.3:
	s_load_b128 s[24:27], s[0:1], 0x0
	s_bfe_u32 s2, ttmp6, 0x4000c
	s_load_b256 s[16:23], s[0:1], 0x18
	s_add_co_i32 s2, s2, 1
	s_and_b32 s3, ttmp6, 15
	s_mul_i32 s2, ttmp9, s2
	s_getreg_b32 s4, hwreg(HW_REG_IB_STS2, 6, 4)
	s_add_co_i32 s3, s3, s2
	s_cmp_eq_u32 s4, 0
	v_mov_b64_e32 v[4:5], -1
	s_cselect_b32 s28, ttmp9, s3
	v_mov_b32_e32 v18, 0
	s_wait_kmcnt 0x0
	s_mul_u64 s[36:37], s[28:29], s[26:27]
	s_delay_alu instid0(SALU_CYCLE_1) | instskip(NEXT) | instid1(SALU_CYCLE_1)
	s_lshl_b64 s[2:3], s[36:37], 8
	v_dual_mov_b32 v7, s3 :: v_dual_bitop2_b32 v6, s2, v0 bitop3:0x54
	s_mov_b32 s2, exec_lo
	s_delay_alu instid0(VALU_DEP_1)
	v_cmpx_gt_i64_e64 s[24:25], v[6:7]
	s_cbranch_execz .LBB7_5
; %bb.4:
	v_lshlrev_b64_e32 v[2:3], 3, v[6:7]
	s_mov_b32 s31, 0
	s_delay_alu instid0(VALU_DEP_1)
	v_add_nc_u64_e32 v[4:5], s[16:17], v[2:3]
	v_add_nc_u64_e32 v[2:3], s[18:19], v[2:3]
	global_load_b64 v[8:9], v[4:5], off th:TH_LOAD_NT
	global_load_b64 v[10:11], v[2:3], off th:TH_LOAD_NT
	s_wait_loadcnt 0x1
	s_wait_xcnt 0x1
	v_sub_nc_u64_e64 v[4:5], v[8:9], s[30:31]
	s_wait_loadcnt 0x0
	v_lshl_add_u64 v[2:3], v[10:11], 2, s[22:23]
	s_ashr_i32 s31, s30, 31
	v_lshl_add_u64 v[8:9], v[6:7], 2, s[20:21]
	s_lshl_b64 s[4:5], s[30:31], 2
	s_delay_alu instid0(VALU_DEP_2) | instid1(SALU_CYCLE_1)
	v_sub_nc_u64_e64 v[2:3], v[2:3], s[4:5]
	global_load_b32 v1, v[8:9], off th:TH_LOAD_NT
	global_load_b32 v10, v[2:3], off
	s_wait_loadcnt 0x0
	v_mul_f32_e32 v18, v1, v10
.LBB7_5:
	s_or_b32 exec_lo, exec_lo, s2
	v_dual_lshlrev_b32 v2, 2, v0 :: v_dual_lshlrev_b32 v1, 3, v0
	v_cmp_eq_u32_e64 s2, 0, v0
	v_cmp_ne_u32_e64 s3, 0, v0
	ds_store_b64 v1, v[4:5]
	ds_store_b32 v2, v18 offset:2048
	v_or_b32_e32 v16, 0x800, v2
	v_add_nc_u32_e32 v17, -8, v1
	s_wait_dscnt 0x0
	s_barrier_signal -1
	s_barrier_wait -1
	s_and_saveexec_b32 s4, s3
	s_cbranch_execz .LBB7_9
; %bb.6:
	ds_load_b64 v[8:9], v17
	s_mov_b32 s5, exec_lo
	s_wait_dscnt 0x0
	v_cmpx_eq_u64_e64 v[4:5], v[8:9]
	s_cbranch_execz .LBB7_8
; %bb.7:
	v_add_nc_u32_e32 v3, -4, v16
	ds_load_b32 v3, v3
	s_wait_dscnt 0x0
	v_add_f32_e32 v18, v18, v3
.LBB7_8:
	s_or_b32 exec_lo, exec_lo, s5
.LBB7_9:
	s_delay_alu instid0(SALU_CYCLE_1)
	s_or_b32 exec_lo, exec_lo, s4
	v_cmp_lt_u32_e64 s4, 1, v0
	v_add_nc_u32_e32 v19, -16, v1
	s_barrier_signal -1
	s_barrier_wait -1
	ds_store_b32 v16, v18
	s_wait_dscnt 0x0
	s_barrier_signal -1
	s_barrier_wait -1
	s_and_saveexec_b32 s5, s4
	s_cbranch_execz .LBB7_13
; %bb.10:
	ds_load_b64 v[8:9], v19
	s_mov_b32 s6, exec_lo
	s_wait_dscnt 0x0
	v_cmpx_eq_u64_e64 v[4:5], v[8:9]
	s_cbranch_execz .LBB7_12
; %bb.11:
	v_add_nc_u32_e32 v3, -8, v16
	ds_load_b32 v3, v3
	s_wait_dscnt 0x0
	v_add_f32_e32 v18, v18, v3
.LBB7_12:
	s_or_b32 exec_lo, exec_lo, s6
.LBB7_13:
	s_delay_alu instid0(SALU_CYCLE_1)
	s_or_b32 exec_lo, exec_lo, s5
	v_cmp_lt_u32_e64 s5, 3, v0
	v_subrev_nc_u32_e32 v20, 32, v1
	s_barrier_signal -1
	s_barrier_wait -1
	ds_store_b32 v16, v18
	s_wait_dscnt 0x0
	s_barrier_signal -1
	s_barrier_wait -1
	s_and_saveexec_b32 s6, s5
	s_cbranch_execz .LBB7_17
; %bb.14:
	ds_load_b64 v[8:9], v20
	s_mov_b32 s7, exec_lo
	s_wait_dscnt 0x0
	v_cmpx_eq_u64_e64 v[4:5], v[8:9]
	s_cbranch_execz .LBB7_16
; %bb.15:
	v_add_nc_u32_e32 v3, -16, v16
	ds_load_b32 v3, v3
	s_wait_dscnt 0x0
	v_add_f32_e32 v18, v18, v3
.LBB7_16:
	s_or_b32 exec_lo, exec_lo, s7
.LBB7_17:
	s_delay_alu instid0(SALU_CYCLE_1)
	s_or_b32 exec_lo, exec_lo, s6
	v_cmp_lt_u32_e64 s6, 7, v0
	v_subrev_nc_u32_e32 v21, 64, v1
	s_barrier_signal -1
	s_barrier_wait -1
	ds_store_b32 v16, v18
	s_wait_dscnt 0x0
	s_barrier_signal -1
	s_barrier_wait -1
	s_and_saveexec_b32 s7, s6
	s_cbranch_execz .LBB7_21
; %bb.18:
	ds_load_b64 v[8:9], v21
	s_mov_b32 s8, exec_lo
	s_wait_dscnt 0x0
	v_cmpx_eq_u64_e64 v[4:5], v[8:9]
	s_cbranch_execz .LBB7_20
; %bb.19:
	v_subrev_nc_u32_e32 v3, 32, v16
	ds_load_b32 v3, v3
	s_wait_dscnt 0x0
	v_add_f32_e32 v18, v18, v3
.LBB7_20:
	s_or_b32 exec_lo, exec_lo, s8
.LBB7_21:
	s_delay_alu instid0(SALU_CYCLE_1)
	s_or_b32 exec_lo, exec_lo, s7
	v_cmp_lt_u32_e64 s7, 15, v0
	v_add_nc_u32_e32 v22, 0xffffff80, v1
	s_barrier_signal -1
	s_barrier_wait -1
	ds_store_b32 v16, v18
	s_wait_dscnt 0x0
	s_barrier_signal -1
	s_barrier_wait -1
	s_and_saveexec_b32 s8, s7
	s_cbranch_execz .LBB7_25
; %bb.22:
	ds_load_b64 v[8:9], v22
	s_mov_b32 s9, exec_lo
	s_wait_dscnt 0x0
	v_cmpx_eq_u64_e64 v[4:5], v[8:9]
	s_cbranch_execz .LBB7_24
; %bb.23:
	v_subrev_nc_u32_e32 v3, 64, v16
	ds_load_b32 v3, v3
	s_wait_dscnt 0x0
	v_add_f32_e32 v18, v18, v3
.LBB7_24:
	s_or_b32 exec_lo, exec_lo, s9
.LBB7_25:
	s_delay_alu instid0(SALU_CYCLE_1)
	s_or_b32 exec_lo, exec_lo, s8
	v_cmp_lt_u32_e64 s8, 31, v0
	v_add_nc_u32_e32 v23, 0xffffff00, v1
	s_barrier_signal -1
	s_barrier_wait -1
	ds_store_b32 v16, v18
	s_wait_dscnt 0x0
	s_barrier_signal -1
	s_barrier_wait -1
	s_and_saveexec_b32 s9, s8
	s_cbranch_execz .LBB7_29
; %bb.26:
	ds_load_b64 v[8:9], v23
	s_mov_b32 s10, exec_lo
	s_wait_dscnt 0x0
	v_cmpx_eq_u64_e64 v[4:5], v[8:9]
	s_cbranch_execz .LBB7_28
; %bb.27:
	v_add_nc_u32_e32 v3, 0xffffff80, v16
	ds_load_b32 v3, v3
	s_wait_dscnt 0x0
	v_add_f32_e32 v18, v18, v3
.LBB7_28:
	s_or_b32 exec_lo, exec_lo, s10
.LBB7_29:
	s_delay_alu instid0(SALU_CYCLE_1)
	s_or_b32 exec_lo, exec_lo, s9
	v_cmp_lt_u32_e64 s9, 63, v0
	v_add_nc_u32_e32 v24, 0xfffffe00, v1
	s_barrier_signal -1
	s_barrier_wait -1
	ds_store_b32 v16, v18
	s_wait_dscnt 0x0
	s_barrier_signal -1
	s_barrier_wait -1
	s_and_saveexec_b32 s10, s9
	s_cbranch_execz .LBB7_33
; %bb.30:
	ds_load_b64 v[8:9], v24
	s_mov_b32 s11, exec_lo
	s_wait_dscnt 0x0
	v_cmpx_eq_u64_e64 v[4:5], v[8:9]
	s_cbranch_execz .LBB7_32
; %bb.31:
	v_add_nc_u32_e32 v3, 0xffffff00, v16
	ds_load_b32 v3, v3
	s_wait_dscnt 0x0
	v_add_f32_e32 v18, v18, v3
.LBB7_32:
	s_or_b32 exec_lo, exec_lo, s11
.LBB7_33:
	;; [unrolled: 26-line block ×3, first 2 shown]
	s_delay_alu instid0(SALU_CYCLE_1)
	s_or_b32 exec_lo, exec_lo, s11
	s_load_b64 s[34:35], s[0:1], 0x38
	v_cmp_gt_u32_e64 s11, 0xff, v0
	s_barrier_signal -1
	s_barrier_wait -1
	ds_store_b32 v16, v18
	s_wait_dscnt 0x0
	s_barrier_signal -1
	s_barrier_wait -1
	s_and_saveexec_b32 s13, s11
	s_cbranch_execz .LBB7_40
; %bb.38:
	ds_load_b64 v[8:9], v1 offset:8
	v_cmp_lt_i64_e64 s12, -1, v[4:5]
	s_wait_dscnt 0x0
	v_cmp_ne_u64_e32 vcc_lo, v[4:5], v[8:9]
	s_and_b32 s12, s12, vcc_lo
	s_delay_alu instid0(SALU_CYCLE_1)
	s_and_b32 exec_lo, exec_lo, s12
	s_cbranch_execz .LBB7_40
; %bb.39:
	s_wait_kmcnt 0x0
	v_lshl_add_u64 v[8:9], v[4:5], 2, s[34:35]
	global_load_b32 v3, v[8:9], off
	s_wait_loadcnt 0x0
	v_fmac_f32_e32 v3, s14, v18
	global_store_b32 v[8:9], v3, off
.LBB7_40:
	s_wait_xcnt 0x0
	s_or_b32 exec_lo, exec_lo, s13
	v_cmp_lt_i64_e64 s12, s[26:27], 2
	s_and_b32 vcc_lo, exec_lo, s12
	s_cbranch_vccnz .LBB7_87
; %bb.41:
	s_lshl_b64 s[38:39], s[36:37], 11
	s_lshl_b64 s[36:37], s[36:37], 10
	v_lshl_or_b32 v4, v0, 3, s38
	v_dual_mov_b32 v5, s39 :: v_dual_mov_b32 v3, 0
	s_add_nc_u64 s[20:21], s[20:21], s[36:37]
	v_add_nc_u64_e32 v[6:7], 0x100, v[6:7]
	s_ashr_i32 s13, s30, 31
	s_delay_alu instid0(VALU_DEP_2)
	v_add_nc_u64_e32 v[4:5], 0x800, v[4:5]
	v_add_nc_u64_e32 v[10:11], s[20:21], v[2:3]
	s_mov_b32 s12, s30
	v_dual_add_nc_u32 v26, -4, v16 :: v_dual_add_nc_u32 v2, -8, v16
	v_add_nc_u32_e32 v27, -16, v16
	v_subrev_nc_u32_e32 v28, 32, v16
	v_add_nc_u64_e32 v[8:9], s[18:19], v[4:5]
	v_add_nc_u64_e32 v[10:11], 0x400, v[10:11]
	;; [unrolled: 1-line block ×3, first 2 shown]
	v_subrev_nc_u32_e32 v29, 64, v16
	v_add_nc_u32_e32 v30, 0xffffff80, v16
	v_add_nc_u32_e32 v31, 0xffffff00, v16
	;; [unrolled: 1-line block ×3, first 2 shown]
	s_lshl_b64 s[12:13], s[12:13], 2
	s_add_nc_u64 s[26:27], s[26:27], -1
	s_mov_b32 s31, 0
	s_sub_nc_u64 s[16:17], s[22:23], s[12:13]
	s_mov_b64 s[18:19], 0
	s_branch .LBB7_43
.LBB7_42:                               ;   in Loop: Header=BB7_43 Depth=1
	s_wait_xcnt 0x0
	s_or_b32 exec_lo, exec_lo, s13
	s_add_nc_u64 s[18:19], s[18:19], 1
	v_add_nc_u64_e32 v[8:9], 0x800, v[8:9]
	v_cmp_le_u64_e64 s12, s[26:27], s[18:19]
	v_add_nc_u64_e32 v[10:11], 0x400, v[10:11]
	v_add_nc_u64_e32 v[12:13], 0x800, v[12:13]
	;; [unrolled: 1-line block ×3, first 2 shown]
	s_and_b32 vcc_lo, exec_lo, s12
	s_cbranch_vccnz .LBB7_87
.LBB7_43:                               ; =>This Inner Loop Header: Depth=1
	v_mov_b64_e32 v[4:5], -1
	v_mov_b32_e32 v18, 0
	s_mov_b32 s12, exec_lo
	s_delay_alu instid0(VALU_DEP_3)
	v_cmpx_gt_i64_e64 s[24:25], v[6:7]
	s_cbranch_execz .LBB7_45
; %bb.44:                               ;   in Loop: Header=BB7_43 Depth=1
	global_load_b64 v[4:5], v[8:9], off th:TH_LOAD_NT
	s_wait_loadcnt 0x0
	v_lshl_add_u64 v[4:5], v[4:5], 2, s[16:17]
	global_load_b64 v[14:15], v[12:13], off th:TH_LOAD_NT
	global_load_b32 v18, v[10:11], off th:TH_LOAD_NT
	global_load_b32 v33, v[4:5], off
	s_wait_loadcnt 0x2
	s_wait_xcnt 0x0
	v_sub_nc_u64_e64 v[4:5], v[14:15], s[30:31]
	s_wait_loadcnt 0x0
	v_mul_f32_e32 v18, v18, v33
.LBB7_45:                               ;   in Loop: Header=BB7_43 Depth=1
	s_or_b32 exec_lo, exec_lo, s12
	s_and_saveexec_b32 s12, s2
	s_cbranch_execz .LBB7_52
; %bb.46:                               ;   in Loop: Header=BB7_43 Depth=1
	ds_load_b64 v[14:15], v3 offset:2040
	s_mov_b32 s13, exec_lo
	s_wait_dscnt 0x0
	v_cmpx_ne_u64_e64 v[4:5], v[14:15]
	s_xor_b32 s13, exec_lo, s13
	s_cbranch_execz .LBB7_49
; %bb.47:                               ;   in Loop: Header=BB7_43 Depth=1
	v_cmp_gt_i64_e32 vcc_lo, 0, v[14:15]
	s_cbranch_vccnz .LBB7_49
; %bb.48:                               ;   in Loop: Header=BB7_43 Depth=1
	v_lshlrev_b64_e32 v[14:15], 2, v[14:15]
	ds_load_b32 v34, v3 offset:3068
	s_wait_kmcnt 0x0
	v_add_nc_u64_e32 v[14:15], s[34:35], v[14:15]
	global_load_b32 v33, v[14:15], off
	s_wait_loadcnt_dscnt 0x0
	v_fmac_f32_e32 v33, s14, v34
	global_store_b32 v[14:15], v33, off
.LBB7_49:                               ;   in Loop: Header=BB7_43 Depth=1
	s_wait_xcnt 0x0
	s_and_not1_saveexec_b32 s13, s13
	s_cbranch_execz .LBB7_51
; %bb.50:                               ;   in Loop: Header=BB7_43 Depth=1
	ds_load_b32 v14, v3 offset:3068
	s_wait_dscnt 0x0
	v_add_f32_e32 v18, v18, v14
.LBB7_51:                               ;   in Loop: Header=BB7_43 Depth=1
	s_or_b32 exec_lo, exec_lo, s13
.LBB7_52:                               ;   in Loop: Header=BB7_43 Depth=1
	s_delay_alu instid0(SALU_CYCLE_1)
	s_or_b32 exec_lo, exec_lo, s12
	s_wait_storecnt 0x0
	s_barrier_signal -1
	s_barrier_wait -1
	ds_store_b64 v1, v[4:5]
	ds_store_b32 v16, v18
	s_wait_dscnt 0x0
	s_barrier_signal -1
	s_barrier_wait -1
	s_and_saveexec_b32 s12, s3
	s_cbranch_execz .LBB7_56
; %bb.53:                               ;   in Loop: Header=BB7_43 Depth=1
	ds_load_b64 v[14:15], v17
	s_mov_b32 s13, exec_lo
	s_wait_dscnt 0x0
	v_cmpx_eq_u64_e64 v[4:5], v[14:15]
	s_cbranch_execz .LBB7_55
; %bb.54:                               ;   in Loop: Header=BB7_43 Depth=1
	ds_load_b32 v14, v26
	s_wait_dscnt 0x0
	v_add_f32_e32 v18, v18, v14
.LBB7_55:                               ;   in Loop: Header=BB7_43 Depth=1
	s_or_b32 exec_lo, exec_lo, s13
.LBB7_56:                               ;   in Loop: Header=BB7_43 Depth=1
	s_delay_alu instid0(SALU_CYCLE_1)
	s_or_b32 exec_lo, exec_lo, s12
	s_barrier_signal -1
	s_barrier_wait -1
	ds_store_b32 v16, v18
	s_wait_dscnt 0x0
	s_barrier_signal -1
	s_barrier_wait -1
	s_and_saveexec_b32 s12, s4
	s_cbranch_execz .LBB7_60
; %bb.57:                               ;   in Loop: Header=BB7_43 Depth=1
	ds_load_b64 v[14:15], v19
	s_mov_b32 s13, exec_lo
	s_wait_dscnt 0x0
	v_cmpx_eq_u64_e64 v[4:5], v[14:15]
	s_cbranch_execz .LBB7_59
; %bb.58:                               ;   in Loop: Header=BB7_43 Depth=1
	ds_load_b32 v14, v2
	s_wait_dscnt 0x0
	v_add_f32_e32 v18, v18, v14
.LBB7_59:                               ;   in Loop: Header=BB7_43 Depth=1
	s_or_b32 exec_lo, exec_lo, s13
.LBB7_60:                               ;   in Loop: Header=BB7_43 Depth=1
	s_delay_alu instid0(SALU_CYCLE_1)
	s_or_b32 exec_lo, exec_lo, s12
	s_barrier_signal -1
	s_barrier_wait -1
	;; [unrolled: 23-line block ×8, first 2 shown]
	ds_store_b32 v16, v18
	s_wait_dscnt 0x0
	s_barrier_signal -1
	s_barrier_wait -1
	s_and_saveexec_b32 s13, s11
	s_cbranch_execz .LBB7_42
; %bb.85:                               ;   in Loop: Header=BB7_43 Depth=1
	ds_load_b64 v[14:15], v1 offset:8
	v_cmp_lt_i64_e64 s12, -1, v[4:5]
	s_wait_dscnt 0x0
	v_cmp_ne_u64_e32 vcc_lo, v[4:5], v[14:15]
	s_and_b32 s12, s12, vcc_lo
	s_delay_alu instid0(SALU_CYCLE_1)
	s_and_b32 exec_lo, exec_lo, s12
	s_cbranch_execz .LBB7_42
; %bb.86:                               ;   in Loop: Header=BB7_43 Depth=1
	s_wait_kmcnt 0x0
	v_lshl_add_u64 v[14:15], v[4:5], 2, s[34:35]
	global_load_b32 v33, v[14:15], off
	s_wait_loadcnt 0x0
	v_fmac_f32_e32 v33, s14, v18
	global_store_b32 v[14:15], v33, off
	s_branch .LBB7_42
.LBB7_87:
	s_load_b128 s[4:7], s[0:1], 0x40
	s_wait_xcnt 0x0
	s_mov_b32 s0, exec_lo
	v_cmpx_eq_u32_e32 0xff, v0
	s_cbranch_execz .LBB7_89
; %bb.88:
	v_dual_mov_b32 v0, 0 :: v_dual_mul_f32 v1, s14, v18
	s_lshl_b64 s[0:1], s[28:29], 3
	s_lshl_b64 s[2:3], s[28:29], 2
	s_wait_kmcnt 0x0
	s_add_nc_u64 s[0:1], s[4:5], s[0:1]
	s_add_nc_u64 s[2:3], s[6:7], s[2:3]
	s_clause 0x1
	global_store_b64 v0, v[4:5], s[0:1] th:TH_STORE_NT
	global_store_b32 v0, v1, s[2:3] th:TH_STORE_NT
.LBB7_89:
	s_endpgm
	.section	.rodata,"a",@progbits
	.p2align	6, 0x0
	.amdhsa_kernel _ZN9rocsparseL22coomvn_segmented_loopsILj256ElffffEEvlT0_NS_24const_host_device_scalarIT4_EEPKS1_S6_PKT1_PKT2_PT3_PS1_PS3_21rocsparse_index_base_b
		.amdhsa_group_segment_fixed_size 3072
		.amdhsa_private_segment_fixed_size 0
		.amdhsa_kernarg_size 88
		.amdhsa_user_sgpr_count 2
		.amdhsa_user_sgpr_dispatch_ptr 0
		.amdhsa_user_sgpr_queue_ptr 0
		.amdhsa_user_sgpr_kernarg_segment_ptr 1
		.amdhsa_user_sgpr_dispatch_id 0
		.amdhsa_user_sgpr_kernarg_preload_length 0
		.amdhsa_user_sgpr_kernarg_preload_offset 0
		.amdhsa_user_sgpr_private_segment_size 0
		.amdhsa_wavefront_size32 1
		.amdhsa_uses_dynamic_stack 0
		.amdhsa_enable_private_segment 0
		.amdhsa_system_sgpr_workgroup_id_x 1
		.amdhsa_system_sgpr_workgroup_id_y 0
		.amdhsa_system_sgpr_workgroup_id_z 0
		.amdhsa_system_sgpr_workgroup_info 0
		.amdhsa_system_vgpr_workitem_id 0
		.amdhsa_next_free_vgpr 35
		.amdhsa_next_free_sgpr 40
		.amdhsa_named_barrier_count 0
		.amdhsa_reserve_vcc 1
		.amdhsa_float_round_mode_32 0
		.amdhsa_float_round_mode_16_64 0
		.amdhsa_float_denorm_mode_32 3
		.amdhsa_float_denorm_mode_16_64 3
		.amdhsa_fp16_overflow 0
		.amdhsa_memory_ordered 1
		.amdhsa_forward_progress 1
		.amdhsa_inst_pref_size 23
		.amdhsa_round_robin_scheduling 0
		.amdhsa_exception_fp_ieee_invalid_op 0
		.amdhsa_exception_fp_denorm_src 0
		.amdhsa_exception_fp_ieee_div_zero 0
		.amdhsa_exception_fp_ieee_overflow 0
		.amdhsa_exception_fp_ieee_underflow 0
		.amdhsa_exception_fp_ieee_inexact 0
		.amdhsa_exception_int_div_zero 0
	.end_amdhsa_kernel
	.section	.text._ZN9rocsparseL22coomvn_segmented_loopsILj256ElffffEEvlT0_NS_24const_host_device_scalarIT4_EEPKS1_S6_PKT1_PKT2_PT3_PS1_PS3_21rocsparse_index_base_b,"axG",@progbits,_ZN9rocsparseL22coomvn_segmented_loopsILj256ElffffEEvlT0_NS_24const_host_device_scalarIT4_EEPKS1_S6_PKT1_PKT2_PT3_PS1_PS3_21rocsparse_index_base_b,comdat
.Lfunc_end7:
	.size	_ZN9rocsparseL22coomvn_segmented_loopsILj256ElffffEEvlT0_NS_24const_host_device_scalarIT4_EEPKS1_S6_PKT1_PKT2_PT3_PS1_PS3_21rocsparse_index_base_b, .Lfunc_end7-_ZN9rocsparseL22coomvn_segmented_loopsILj256ElffffEEvlT0_NS_24const_host_device_scalarIT4_EEPKS1_S6_PKT1_PKT2_PT3_PS1_PS3_21rocsparse_index_base_b
                                        ; -- End function
	.set _ZN9rocsparseL22coomvn_segmented_loopsILj256ElffffEEvlT0_NS_24const_host_device_scalarIT4_EEPKS1_S6_PKT1_PKT2_PT3_PS1_PS3_21rocsparse_index_base_b.num_vgpr, 35
	.set _ZN9rocsparseL22coomvn_segmented_loopsILj256ElffffEEvlT0_NS_24const_host_device_scalarIT4_EEPKS1_S6_PKT1_PKT2_PT3_PS1_PS3_21rocsparse_index_base_b.num_agpr, 0
	.set _ZN9rocsparseL22coomvn_segmented_loopsILj256ElffffEEvlT0_NS_24const_host_device_scalarIT4_EEPKS1_S6_PKT1_PKT2_PT3_PS1_PS3_21rocsparse_index_base_b.numbered_sgpr, 40
	.set _ZN9rocsparseL22coomvn_segmented_loopsILj256ElffffEEvlT0_NS_24const_host_device_scalarIT4_EEPKS1_S6_PKT1_PKT2_PT3_PS1_PS3_21rocsparse_index_base_b.num_named_barrier, 0
	.set _ZN9rocsparseL22coomvn_segmented_loopsILj256ElffffEEvlT0_NS_24const_host_device_scalarIT4_EEPKS1_S6_PKT1_PKT2_PT3_PS1_PS3_21rocsparse_index_base_b.private_seg_size, 0
	.set _ZN9rocsparseL22coomvn_segmented_loopsILj256ElffffEEvlT0_NS_24const_host_device_scalarIT4_EEPKS1_S6_PKT1_PKT2_PT3_PS1_PS3_21rocsparse_index_base_b.uses_vcc, 1
	.set _ZN9rocsparseL22coomvn_segmented_loopsILj256ElffffEEvlT0_NS_24const_host_device_scalarIT4_EEPKS1_S6_PKT1_PKT2_PT3_PS1_PS3_21rocsparse_index_base_b.uses_flat_scratch, 0
	.set _ZN9rocsparseL22coomvn_segmented_loopsILj256ElffffEEvlT0_NS_24const_host_device_scalarIT4_EEPKS1_S6_PKT1_PKT2_PT3_PS1_PS3_21rocsparse_index_base_b.has_dyn_sized_stack, 0
	.set _ZN9rocsparseL22coomvn_segmented_loopsILj256ElffffEEvlT0_NS_24const_host_device_scalarIT4_EEPKS1_S6_PKT1_PKT2_PT3_PS1_PS3_21rocsparse_index_base_b.has_recursion, 0
	.set _ZN9rocsparseL22coomvn_segmented_loopsILj256ElffffEEvlT0_NS_24const_host_device_scalarIT4_EEPKS1_S6_PKT1_PKT2_PT3_PS1_PS3_21rocsparse_index_base_b.has_indirect_call, 0
	.section	.AMDGPU.csdata,"",@progbits
; Kernel info:
; codeLenInByte = 2828
; TotalNumSgprs: 42
; NumVgprs: 35
; ScratchSize: 0
; MemoryBound: 1
; FloatMode: 240
; IeeeMode: 1
; LDSByteSize: 3072 bytes/workgroup (compile time only)
; SGPRBlocks: 0
; VGPRBlocks: 2
; NumSGPRsForWavesPerEU: 42
; NumVGPRsForWavesPerEU: 35
; NamedBarCnt: 0
; Occupancy: 16
; WaveLimiterHint : 1
; COMPUTE_PGM_RSRC2:SCRATCH_EN: 0
; COMPUTE_PGM_RSRC2:USER_SGPR: 2
; COMPUTE_PGM_RSRC2:TRAP_HANDLER: 0
; COMPUTE_PGM_RSRC2:TGID_X_EN: 1
; COMPUTE_PGM_RSRC2:TGID_Y_EN: 0
; COMPUTE_PGM_RSRC2:TGID_Z_EN: 0
; COMPUTE_PGM_RSRC2:TIDIG_COMP_CNT: 0
	.section	.text._ZN9rocsparseL29coomvn_segmented_loops_reduceILj256ElffEEvT0_NS_24const_host_device_scalarIT2_EEPKS1_PKS3_PT1_b,"axG",@progbits,_ZN9rocsparseL29coomvn_segmented_loops_reduceILj256ElffEEvT0_NS_24const_host_device_scalarIT2_EEPKS1_PKS3_PT1_b,comdat
	.globl	_ZN9rocsparseL29coomvn_segmented_loops_reduceILj256ElffEEvT0_NS_24const_host_device_scalarIT2_EEPKS1_PKS3_PT1_b ; -- Begin function _ZN9rocsparseL29coomvn_segmented_loops_reduceILj256ElffEEvT0_NS_24const_host_device_scalarIT2_EEPKS1_PKS3_PT1_b
	.p2align	8
	.type	_ZN9rocsparseL29coomvn_segmented_loops_reduceILj256ElffEEvT0_NS_24const_host_device_scalarIT2_EEPKS1_PKS3_PT1_b,@function
_ZN9rocsparseL29coomvn_segmented_loops_reduceILj256ElffEEvT0_NS_24const_host_device_scalarIT2_EEPKS1_PKS3_PT1_b: ; @_ZN9rocsparseL29coomvn_segmented_loops_reduceILj256ElffEEvT0_NS_24const_host_device_scalarIT2_EEPKS1_PKS3_PT1_b
; %bb.0:
	s_clause 0x1
	s_load_b32 s2, s[0:1], 0x28
	s_load_b128 s[4:7], s[0:1], 0x0
	s_wait_kmcnt 0x0
	s_bitcmp1_b32 s2, 0
	s_cselect_b32 s2, -1, 0
	s_delay_alu instid0(SALU_CYCLE_1)
	s_and_b32 vcc_lo, exec_lo, s2
	s_cbranch_vccnz .LBB8_2
; %bb.1:
	s_load_b32 s6, s[6:7], 0x0
.LBB8_2:
	s_wait_kmcnt 0x0
	s_cmp_eq_f32 s6, 0
	s_cbranch_scc1 .LBB8_44
; %bb.3:
	v_cmp_lt_i64_e64 s2, s[4:5], 1
	s_and_b32 vcc_lo, exec_lo, s2
	s_cbranch_vccnz .LBB8_44
; %bb.4:
	s_clause 0x1
	s_load_b128 s[8:11], s[0:1], 0x10
	s_load_b64 s[2:3], s[0:1], 0x20
	s_wait_xcnt 0x0
	v_sub_co_u32 v3, s0, v0, 1
	s_xor_b32 s12, s0, -1
	v_sub_co_u32 v5, s0, v0, 2
	v_lshl_add_u32 v14, v3, 2, 0x800
	s_xor_b32 s13, s0, -1
	v_sub_co_u32 v3, s0, v0, 4
	s_delay_alu instid0(VALU_DEP_3) | instskip(SKIP_2) | instid1(VALU_DEP_3)
	v_lshl_add_u32 v16, v5, 2, 0x800
	s_xor_b32 s14, s0, -1
	v_sub_co_u32 v5, s0, v0, 8
	v_lshl_add_u32 v18, v3, 2, 0x800
	s_xor_b32 s15, s0, -1
	v_sub_co_u32 v3, s0, v0, 16
	v_dual_mov_b32 v1, 0 :: v_dual_lshlrev_b32 v4, 2, v0
	v_lshl_add_u32 v20, v5, 2, 0x800
	s_xor_b32 s16, s0, -1
	v_sub_co_u32 v5, s0, v0, 32
	v_lshlrev_b32_e32 v2, 3, v0
	v_lshl_add_u32 v22, v3, 2, 0x800
	v_sub_co_u32 v6, s1, v0, 64
	s_delay_alu instid0(VALU_DEP_4)
	v_lshl_add_u32 v24, v5, 2, 0x800
	v_dual_mov_b32 v5, v1 :: v_dual_mov_b32 v3, v1
	v_subrev_co_u32 v8, s6, 0x80, v0
	v_or_b32_e32 v12, 0x800, v4
	v_lshl_add_u32 v26, v6, 2, 0x800
	s_wait_kmcnt 0x0
	v_add_nc_u64_e32 v[4:5], s[10:11], v[4:5]
	v_add_nc_u64_e32 v[6:7], s[8:9], v[2:3]
	v_dual_add_nc_u32 v13, -8, v2 :: v_dual_add_nc_u32 v15, -16, v2
	v_subrev_nc_u32_e32 v17, 32, v2
	v_subrev_nc_u32_e32 v19, 64, v2
	v_add_nc_u32_e32 v21, 0xffffff80, v2
	s_xor_b32 s17, s0, -1
	v_add_nc_u32_e32 v23, 0xffffff00, v2
	v_add_nc_u32_e32 v25, 0xfffffe00, v2
	;; [unrolled: 1-line block ×3, first 2 shown]
	v_lshl_add_u32 v3, v8, 2, 0x800
	v_cmp_gt_u32_e64 s0, 0xff, v0
	s_xor_b32 s8, s1, -1
	s_xor_b32 s9, s6, -1
	s_mov_b64 s[6:7], 0
	s_branch .LBB8_6
.LBB8_5:                                ;   in Loop: Header=BB8_6 Depth=1
	s_wait_xcnt 0x0
	s_or_b32 exec_lo, exec_lo, s1
	s_add_nc_u64 s[6:7], s[6:7], 0x100
	v_add_nc_u64_e32 v[4:5], 0x400, v[4:5]
	v_cmp_lt_i64_e64 s1, s[6:7], s[4:5]
	v_add_nc_u64_e32 v[6:7], 0x800, v[6:7]
	s_wait_storecnt 0x0
	s_barrier_signal -1
	s_barrier_wait -1
	s_and_b32 vcc_lo, exec_lo, s1
	s_cbranch_vccz .LBB8_44
.LBB8_6:                                ; =>This Inner Loop Header: Depth=1
	v_add_nc_u64_e32 v[8:9], s[6:7], v[0:1]
	v_mov_b32_e32 v10, 0
	s_delay_alu instid0(VALU_DEP_2)
	v_cmp_gt_i64_e32 vcc_lo, s[4:5], v[8:9]
	v_mov_b64_e32 v[8:9], -1
	s_and_saveexec_b32 s1, vcc_lo
	s_cbranch_execz .LBB8_8
; %bb.7:                                ;   in Loop: Header=BB8_6 Depth=1
	global_load_b64 v[8:9], v[6:7], off
	global_load_b32 v10, v[4:5], off
.LBB8_8:                                ;   in Loop: Header=BB8_6 Depth=1
	s_wait_xcnt 0x0
	s_or_b32 exec_lo, exec_lo, s1
	s_wait_loadcnt 0x1
	ds_store_b64 v2, v[8:9]
	s_wait_loadcnt 0x0
	ds_store_b32 v12, v10
	v_dual_mov_b32 v8, 0 :: v_dual_mov_b32 v9, 0
	s_wait_dscnt 0x0
	s_barrier_signal -1
	s_barrier_wait -1
	s_and_saveexec_b32 s1, s12
	s_cbranch_execz .LBB8_12
; %bb.9:                                ;   in Loop: Header=BB8_6 Depth=1
	ds_load_2addr_b64 v[28:31], v13 offset1:1
	v_mov_b32_e32 v9, 0
	s_mov_b32 s10, exec_lo
	s_wait_dscnt 0x0
	v_cmpx_eq_u64_e64 v[30:31], v[28:29]
; %bb.10:                               ;   in Loop: Header=BB8_6 Depth=1
	ds_load_b32 v9, v14
; %bb.11:                               ;   in Loop: Header=BB8_6 Depth=1
	s_or_b32 exec_lo, exec_lo, s10
.LBB8_12:                               ;   in Loop: Header=BB8_6 Depth=1
	s_delay_alu instid0(SALU_CYCLE_1)
	s_or_b32 exec_lo, exec_lo, s1
	s_wait_dscnt 0x0
	s_barrier_signal -1
	s_barrier_wait -1
	ds_load_b32 v10, v12
	s_wait_dscnt 0x0
	v_add_f32_e32 v9, v9, v10
	ds_store_b32 v12, v9
	s_wait_dscnt 0x0
	s_barrier_signal -1
	s_barrier_wait -1
	s_and_saveexec_b32 s1, s13
	s_cbranch_execz .LBB8_16
; %bb.13:                               ;   in Loop: Header=BB8_6 Depth=1
	ds_load_b64 v[8:9], v2
	ds_load_b64 v[10:11], v15
	s_wait_dscnt 0x0
	v_cmp_eq_u64_e32 vcc_lo, v[8:9], v[10:11]
	v_mov_b32_e32 v8, 0
	s_and_saveexec_b32 s10, vcc_lo
; %bb.14:                               ;   in Loop: Header=BB8_6 Depth=1
	ds_load_b32 v8, v16
; %bb.15:                               ;   in Loop: Header=BB8_6 Depth=1
	s_or_b32 exec_lo, exec_lo, s10
.LBB8_16:                               ;   in Loop: Header=BB8_6 Depth=1
	s_delay_alu instid0(SALU_CYCLE_1)
	s_or_b32 exec_lo, exec_lo, s1
	s_wait_dscnt 0x0
	s_barrier_signal -1
	s_barrier_wait -1
	ds_load_b32 v9, v12
	s_wait_dscnt 0x0
	v_dual_add_f32 v10, v8, v9 :: v_dual_mov_b32 v8, 0
	v_mov_b32_e32 v9, 0
	ds_store_b32 v12, v10
	s_wait_dscnt 0x0
	s_barrier_signal -1
	s_barrier_wait -1
	s_and_saveexec_b32 s1, s14
	s_cbranch_execz .LBB8_20
; %bb.17:                               ;   in Loop: Header=BB8_6 Depth=1
	ds_load_b64 v[10:11], v2
	ds_load_b64 v[28:29], v17
	v_mov_b32_e32 v9, 0
	s_mov_b32 s10, exec_lo
	s_wait_dscnt 0x0
	v_cmpx_eq_u64_e64 v[10:11], v[28:29]
; %bb.18:                               ;   in Loop: Header=BB8_6 Depth=1
	ds_load_b32 v9, v18
; %bb.19:                               ;   in Loop: Header=BB8_6 Depth=1
	s_or_b32 exec_lo, exec_lo, s10
.LBB8_20:                               ;   in Loop: Header=BB8_6 Depth=1
	s_delay_alu instid0(SALU_CYCLE_1)
	s_or_b32 exec_lo, exec_lo, s1
	s_wait_dscnt 0x0
	s_barrier_signal -1
	s_barrier_wait -1
	ds_load_b32 v10, v12
	s_wait_dscnt 0x0
	v_add_f32_e32 v9, v9, v10
	ds_store_b32 v12, v9
	s_wait_dscnt 0x0
	s_barrier_signal -1
	s_barrier_wait -1
	s_and_saveexec_b32 s1, s15
	s_cbranch_execz .LBB8_24
; %bb.21:                               ;   in Loop: Header=BB8_6 Depth=1
	ds_load_b64 v[8:9], v2
	ds_load_b64 v[10:11], v19
	s_wait_dscnt 0x0
	v_cmp_eq_u64_e32 vcc_lo, v[8:9], v[10:11]
	v_mov_b32_e32 v8, 0
	s_and_saveexec_b32 s10, vcc_lo
; %bb.22:                               ;   in Loop: Header=BB8_6 Depth=1
	ds_load_b32 v8, v20
; %bb.23:                               ;   in Loop: Header=BB8_6 Depth=1
	s_or_b32 exec_lo, exec_lo, s10
.LBB8_24:                               ;   in Loop: Header=BB8_6 Depth=1
	s_delay_alu instid0(SALU_CYCLE_1)
	s_or_b32 exec_lo, exec_lo, s1
	s_wait_dscnt 0x0
	s_barrier_signal -1
	s_barrier_wait -1
	ds_load_b32 v9, v12
	s_wait_dscnt 0x0
	v_dual_add_f32 v10, v8, v9 :: v_dual_mov_b32 v8, 0
	v_mov_b32_e32 v9, 0
	ds_store_b32 v12, v10
	s_wait_dscnt 0x0
	s_barrier_signal -1
	s_barrier_wait -1
	s_and_saveexec_b32 s1, s16
	s_cbranch_execz .LBB8_28
; %bb.25:                               ;   in Loop: Header=BB8_6 Depth=1
	ds_load_b64 v[10:11], v2
	ds_load_b64 v[28:29], v21
	v_mov_b32_e32 v9, 0
	s_mov_b32 s10, exec_lo
	s_wait_dscnt 0x0
	v_cmpx_eq_u64_e64 v[10:11], v[28:29]
; %bb.26:                               ;   in Loop: Header=BB8_6 Depth=1
	ds_load_b32 v9, v22
; %bb.27:                               ;   in Loop: Header=BB8_6 Depth=1
	s_or_b32 exec_lo, exec_lo, s10
.LBB8_28:                               ;   in Loop: Header=BB8_6 Depth=1
	;; [unrolled: 53-line block ×3, first 2 shown]
	s_delay_alu instid0(SALU_CYCLE_1)
	s_or_b32 exec_lo, exec_lo, s1
	s_wait_dscnt 0x0
	s_barrier_signal -1
	s_barrier_wait -1
	ds_load_b32 v10, v12
	s_wait_dscnt 0x0
	v_add_f32_e32 v9, v9, v10
	ds_store_b32 v12, v9
	s_wait_dscnt 0x0
	s_barrier_signal -1
	s_barrier_wait -1
	s_and_saveexec_b32 s1, s9
	s_cbranch_execz .LBB8_40
; %bb.37:                               ;   in Loop: Header=BB8_6 Depth=1
	ds_load_b64 v[8:9], v2
	ds_load_b64 v[10:11], v27
	s_wait_dscnt 0x0
	v_cmp_eq_u64_e32 vcc_lo, v[8:9], v[10:11]
	v_mov_b32_e32 v8, 0
	s_and_saveexec_b32 s10, vcc_lo
; %bb.38:                               ;   in Loop: Header=BB8_6 Depth=1
	ds_load_b32 v8, v3
; %bb.39:                               ;   in Loop: Header=BB8_6 Depth=1
	s_or_b32 exec_lo, exec_lo, s10
.LBB8_40:                               ;   in Loop: Header=BB8_6 Depth=1
	s_delay_alu instid0(SALU_CYCLE_1)
	s_or_b32 exec_lo, exec_lo, s1
	s_wait_dscnt 0x0
	s_barrier_signal -1
	s_barrier_wait -1
	ds_load_b32 v9, v12
	v_mov_b64_e32 v[10:11], -1
	s_wait_dscnt 0x0
	v_add_f32_e32 v8, v8, v9
	ds_store_b32 v12, v8
	s_wait_dscnt 0x0
	s_barrier_signal -1
	s_barrier_wait -1
	ds_load_b64 v[8:9], v2
	s_and_saveexec_b32 s1, s0
; %bb.41:                               ;   in Loop: Header=BB8_6 Depth=1
	ds_load_b64 v[10:11], v2 offset:8
; %bb.42:                               ;   in Loop: Header=BB8_6 Depth=1
	s_or_b32 exec_lo, exec_lo, s1
	s_wait_dscnt 0x0
	v_cmp_ne_u64_e32 vcc_lo, v[8:9], v[10:11]
	v_cmp_lt_i64_e64 s1, -1, v[8:9]
	s_and_b32 s10, s1, vcc_lo
	s_delay_alu instid0(SALU_CYCLE_1)
	s_and_saveexec_b32 s1, s10
	s_cbranch_execz .LBB8_5
; %bb.43:                               ;   in Loop: Header=BB8_6 Depth=1
	v_lshl_add_u64 v[8:9], v[8:9], 2, s[2:3]
	ds_load_b32 v11, v12
	global_load_b32 v10, v[8:9], off
	s_wait_loadcnt_dscnt 0x0
	v_add_f32_e32 v10, v10, v11
	global_store_b32 v[8:9], v10, off
	s_branch .LBB8_5
.LBB8_44:
	s_endpgm
	.section	.rodata,"a",@progbits
	.p2align	6, 0x0
	.amdhsa_kernel _ZN9rocsparseL29coomvn_segmented_loops_reduceILj256ElffEEvT0_NS_24const_host_device_scalarIT2_EEPKS1_PKS3_PT1_b
		.amdhsa_group_segment_fixed_size 3072
		.amdhsa_private_segment_fixed_size 0
		.amdhsa_kernarg_size 44
		.amdhsa_user_sgpr_count 2
		.amdhsa_user_sgpr_dispatch_ptr 0
		.amdhsa_user_sgpr_queue_ptr 0
		.amdhsa_user_sgpr_kernarg_segment_ptr 1
		.amdhsa_user_sgpr_dispatch_id 0
		.amdhsa_user_sgpr_kernarg_preload_length 0
		.amdhsa_user_sgpr_kernarg_preload_offset 0
		.amdhsa_user_sgpr_private_segment_size 0
		.amdhsa_wavefront_size32 1
		.amdhsa_uses_dynamic_stack 0
		.amdhsa_enable_private_segment 0
		.amdhsa_system_sgpr_workgroup_id_x 1
		.amdhsa_system_sgpr_workgroup_id_y 0
		.amdhsa_system_sgpr_workgroup_id_z 0
		.amdhsa_system_sgpr_workgroup_info 0
		.amdhsa_system_vgpr_workitem_id 0
		.amdhsa_next_free_vgpr 32
		.amdhsa_next_free_sgpr 18
		.amdhsa_named_barrier_count 0
		.amdhsa_reserve_vcc 1
		.amdhsa_float_round_mode_32 0
		.amdhsa_float_round_mode_16_64 0
		.amdhsa_float_denorm_mode_32 3
		.amdhsa_float_denorm_mode_16_64 3
		.amdhsa_fp16_overflow 0
		.amdhsa_memory_ordered 1
		.amdhsa_forward_progress 1
		.amdhsa_inst_pref_size 13
		.amdhsa_round_robin_scheduling 0
		.amdhsa_exception_fp_ieee_invalid_op 0
		.amdhsa_exception_fp_denorm_src 0
		.amdhsa_exception_fp_ieee_div_zero 0
		.amdhsa_exception_fp_ieee_overflow 0
		.amdhsa_exception_fp_ieee_underflow 0
		.amdhsa_exception_fp_ieee_inexact 0
		.amdhsa_exception_int_div_zero 0
	.end_amdhsa_kernel
	.section	.text._ZN9rocsparseL29coomvn_segmented_loops_reduceILj256ElffEEvT0_NS_24const_host_device_scalarIT2_EEPKS1_PKS3_PT1_b,"axG",@progbits,_ZN9rocsparseL29coomvn_segmented_loops_reduceILj256ElffEEvT0_NS_24const_host_device_scalarIT2_EEPKS1_PKS3_PT1_b,comdat
.Lfunc_end8:
	.size	_ZN9rocsparseL29coomvn_segmented_loops_reduceILj256ElffEEvT0_NS_24const_host_device_scalarIT2_EEPKS1_PKS3_PT1_b, .Lfunc_end8-_ZN9rocsparseL29coomvn_segmented_loops_reduceILj256ElffEEvT0_NS_24const_host_device_scalarIT2_EEPKS1_PKS3_PT1_b
                                        ; -- End function
	.set _ZN9rocsparseL29coomvn_segmented_loops_reduceILj256ElffEEvT0_NS_24const_host_device_scalarIT2_EEPKS1_PKS3_PT1_b.num_vgpr, 32
	.set _ZN9rocsparseL29coomvn_segmented_loops_reduceILj256ElffEEvT0_NS_24const_host_device_scalarIT2_EEPKS1_PKS3_PT1_b.num_agpr, 0
	.set _ZN9rocsparseL29coomvn_segmented_loops_reduceILj256ElffEEvT0_NS_24const_host_device_scalarIT2_EEPKS1_PKS3_PT1_b.numbered_sgpr, 18
	.set _ZN9rocsparseL29coomvn_segmented_loops_reduceILj256ElffEEvT0_NS_24const_host_device_scalarIT2_EEPKS1_PKS3_PT1_b.num_named_barrier, 0
	.set _ZN9rocsparseL29coomvn_segmented_loops_reduceILj256ElffEEvT0_NS_24const_host_device_scalarIT2_EEPKS1_PKS3_PT1_b.private_seg_size, 0
	.set _ZN9rocsparseL29coomvn_segmented_loops_reduceILj256ElffEEvT0_NS_24const_host_device_scalarIT2_EEPKS1_PKS3_PT1_b.uses_vcc, 1
	.set _ZN9rocsparseL29coomvn_segmented_loops_reduceILj256ElffEEvT0_NS_24const_host_device_scalarIT2_EEPKS1_PKS3_PT1_b.uses_flat_scratch, 0
	.set _ZN9rocsparseL29coomvn_segmented_loops_reduceILj256ElffEEvT0_NS_24const_host_device_scalarIT2_EEPKS1_PKS3_PT1_b.has_dyn_sized_stack, 0
	.set _ZN9rocsparseL29coomvn_segmented_loops_reduceILj256ElffEEvT0_NS_24const_host_device_scalarIT2_EEPKS1_PKS3_PT1_b.has_recursion, 0
	.set _ZN9rocsparseL29coomvn_segmented_loops_reduceILj256ElffEEvT0_NS_24const_host_device_scalarIT2_EEPKS1_PKS3_PT1_b.has_indirect_call, 0
	.section	.AMDGPU.csdata,"",@progbits
; Kernel info:
; codeLenInByte = 1612
; TotalNumSgprs: 20
; NumVgprs: 32
; ScratchSize: 0
; MemoryBound: 0
; FloatMode: 240
; IeeeMode: 1
; LDSByteSize: 3072 bytes/workgroup (compile time only)
; SGPRBlocks: 0
; VGPRBlocks: 1
; NumSGPRsForWavesPerEU: 20
; NumVGPRsForWavesPerEU: 32
; NamedBarCnt: 0
; Occupancy: 16
; WaveLimiterHint : 0
; COMPUTE_PGM_RSRC2:SCRATCH_EN: 0
; COMPUTE_PGM_RSRC2:USER_SGPR: 2
; COMPUTE_PGM_RSRC2:TRAP_HANDLER: 0
; COMPUTE_PGM_RSRC2:TGID_X_EN: 1
; COMPUTE_PGM_RSRC2:TGID_Y_EN: 0
; COMPUTE_PGM_RSRC2:TGID_Z_EN: 0
; COMPUTE_PGM_RSRC2:TIDIG_COMP_CNT: 0
	.section	.text._ZN9rocsparseL13coomvt_kernelILj1024ElffffEEv20rocsparse_operation_lNS_24const_host_device_scalarIT4_EEPKT0_S7_PKT1_PKT2_PT3_21rocsparse_index_base_b,"axG",@progbits,_ZN9rocsparseL13coomvt_kernelILj1024ElffffEEv20rocsparse_operation_lNS_24const_host_device_scalarIT4_EEPKT0_S7_PKT1_PKT2_PT3_21rocsparse_index_base_b,comdat
	.globl	_ZN9rocsparseL13coomvt_kernelILj1024ElffffEEv20rocsparse_operation_lNS_24const_host_device_scalarIT4_EEPKT0_S7_PKT1_PKT2_PT3_21rocsparse_index_base_b ; -- Begin function _ZN9rocsparseL13coomvt_kernelILj1024ElffffEEv20rocsparse_operation_lNS_24const_host_device_scalarIT4_EEPKT0_S7_PKT1_PKT2_PT3_21rocsparse_index_base_b
	.p2align	8
	.type	_ZN9rocsparseL13coomvt_kernelILj1024ElffffEEv20rocsparse_operation_lNS_24const_host_device_scalarIT4_EEPKT0_S7_PKT1_PKT2_PT3_21rocsparse_index_base_b,@function
_ZN9rocsparseL13coomvt_kernelILj1024ElffffEEv20rocsparse_operation_lNS_24const_host_device_scalarIT4_EEPKT0_S7_PKT1_PKT2_PT3_21rocsparse_index_base_b: ; @_ZN9rocsparseL13coomvt_kernelILj1024ElffffEEv20rocsparse_operation_lNS_24const_host_device_scalarIT4_EEPKT0_S7_PKT1_PKT2_PT3_21rocsparse_index_base_b
; %bb.0:
	s_clause 0x1
	s_load_b64 s[2:3], s[0:1], 0x40
	s_load_b128 s[4:7], s[0:1], 0x8
	s_wait_kmcnt 0x0
	s_bitcmp1_b32 s3, 0
	s_cselect_b32 s3, -1, 0
	s_delay_alu instid0(SALU_CYCLE_1)
	s_and_b32 vcc_lo, exec_lo, s3
	s_cbranch_vccnz .LBB9_2
; %bb.1:
	s_load_b32 s6, s[6:7], 0x0
.LBB9_2:
	s_wait_kmcnt 0x0
	s_cmp_eq_f32 s6, 0
	s_cbranch_scc1 .LBB9_5
; %bb.3:
	s_load_b32 s3, s[0:1], 0x54
	s_bfe_u32 s7, ttmp6, 0x4000c
	s_and_b32 s8, ttmp6, 15
	s_add_co_i32 s7, s7, 1
	s_getreg_b32 s9, hwreg(HW_REG_IB_STS2, 6, 4)
	s_mul_i32 s7, ttmp9, s7
	v_mov_b32_e32 v1, 0
	s_add_co_i32 s8, s8, s7
	s_wait_kmcnt 0x0
	s_and_b32 s3, s3, 0xffff
	s_cmp_eq_u32 s9, 0
	s_cselect_b32 s7, ttmp9, s8
	s_delay_alu instid0(SALU_CYCLE_1) | instskip(SKIP_1) | instid1(VALU_DEP_1)
	v_mad_u32 v0, s7, s3, v0
	s_mov_b32 s3, exec_lo
	v_cmpx_gt_i64_e64 s[4:5], v[0:1]
	s_cbranch_execz .LBB9_5
; %bb.4:
	s_load_b256 s[8:15], s[0:1], 0x18
	v_lshlrev_b64_e32 v[2:3], 3, v[0:1]
	s_mov_b32 s3, 0
	s_wait_xcnt 0x0
	s_load_b64 s[0:1], s[0:1], 0x38
	s_wait_kmcnt 0x0
	s_delay_alu instid0(VALU_DEP_1)
	v_add_nc_u64_e32 v[4:5], s[8:9], v[2:3]
	v_add_nc_u64_e32 v[2:3], s[10:11], v[2:3]
	v_lshl_add_u64 v[0:1], v[0:1], 2, s[12:13]
	global_load_b64 v[4:5], v[4:5], off
	global_load_b64 v[6:7], v[2:3], off
	global_load_b32 v8, v[0:1], off
	s_wait_loadcnt 0x2
	s_wait_xcnt 0x2
	v_sub_nc_u64_e64 v[4:5], v[4:5], s[2:3]
	s_wait_loadcnt 0x0
	v_mul_f32_e32 v3, s6, v8
	s_delay_alu instid0(VALU_DEP_2) | instskip(SKIP_3) | instid1(VALU_DEP_1)
	v_lshl_add_u64 v[0:1], v[4:5], 2, s[14:15]
	global_load_b32 v2, v[0:1], off
	s_wait_xcnt 0x0
	v_sub_nc_u64_e64 v[0:1], v[6:7], s[2:3]
	v_lshl_add_u64 v[0:1], v[0:1], 2, s[0:1]
	s_wait_loadcnt 0x0
	v_mul_f32_e32 v2, v3, v2
	global_atomic_add_f32 v[0:1], v2, off scope:SCOPE_DEV
.LBB9_5:
	s_endpgm
	.section	.rodata,"a",@progbits
	.p2align	6, 0x0
	.amdhsa_kernel _ZN9rocsparseL13coomvt_kernelILj1024ElffffEEv20rocsparse_operation_lNS_24const_host_device_scalarIT4_EEPKT0_S7_PKT1_PKT2_PT3_21rocsparse_index_base_b
		.amdhsa_group_segment_fixed_size 0
		.amdhsa_private_segment_fixed_size 0
		.amdhsa_kernarg_size 328
		.amdhsa_user_sgpr_count 2
		.amdhsa_user_sgpr_dispatch_ptr 0
		.amdhsa_user_sgpr_queue_ptr 0
		.amdhsa_user_sgpr_kernarg_segment_ptr 1
		.amdhsa_user_sgpr_dispatch_id 0
		.amdhsa_user_sgpr_kernarg_preload_length 0
		.amdhsa_user_sgpr_kernarg_preload_offset 0
		.amdhsa_user_sgpr_private_segment_size 0
		.amdhsa_wavefront_size32 1
		.amdhsa_uses_dynamic_stack 0
		.amdhsa_enable_private_segment 0
		.amdhsa_system_sgpr_workgroup_id_x 1
		.amdhsa_system_sgpr_workgroup_id_y 0
		.amdhsa_system_sgpr_workgroup_id_z 0
		.amdhsa_system_sgpr_workgroup_info 0
		.amdhsa_system_vgpr_workitem_id 0
		.amdhsa_next_free_vgpr 9
		.amdhsa_next_free_sgpr 16
		.amdhsa_named_barrier_count 0
		.amdhsa_reserve_vcc 1
		.amdhsa_float_round_mode_32 0
		.amdhsa_float_round_mode_16_64 0
		.amdhsa_float_denorm_mode_32 3
		.amdhsa_float_denorm_mode_16_64 3
		.amdhsa_fp16_overflow 0
		.amdhsa_memory_ordered 1
		.amdhsa_forward_progress 1
		.amdhsa_inst_pref_size 3
		.amdhsa_round_robin_scheduling 0
		.amdhsa_exception_fp_ieee_invalid_op 0
		.amdhsa_exception_fp_denorm_src 0
		.amdhsa_exception_fp_ieee_div_zero 0
		.amdhsa_exception_fp_ieee_overflow 0
		.amdhsa_exception_fp_ieee_underflow 0
		.amdhsa_exception_fp_ieee_inexact 0
		.amdhsa_exception_int_div_zero 0
	.end_amdhsa_kernel
	.section	.text._ZN9rocsparseL13coomvt_kernelILj1024ElffffEEv20rocsparse_operation_lNS_24const_host_device_scalarIT4_EEPKT0_S7_PKT1_PKT2_PT3_21rocsparse_index_base_b,"axG",@progbits,_ZN9rocsparseL13coomvt_kernelILj1024ElffffEEv20rocsparse_operation_lNS_24const_host_device_scalarIT4_EEPKT0_S7_PKT1_PKT2_PT3_21rocsparse_index_base_b,comdat
.Lfunc_end9:
	.size	_ZN9rocsparseL13coomvt_kernelILj1024ElffffEEv20rocsparse_operation_lNS_24const_host_device_scalarIT4_EEPKT0_S7_PKT1_PKT2_PT3_21rocsparse_index_base_b, .Lfunc_end9-_ZN9rocsparseL13coomvt_kernelILj1024ElffffEEv20rocsparse_operation_lNS_24const_host_device_scalarIT4_EEPKT0_S7_PKT1_PKT2_PT3_21rocsparse_index_base_b
                                        ; -- End function
	.set _ZN9rocsparseL13coomvt_kernelILj1024ElffffEEv20rocsparse_operation_lNS_24const_host_device_scalarIT4_EEPKT0_S7_PKT1_PKT2_PT3_21rocsparse_index_base_b.num_vgpr, 9
	.set _ZN9rocsparseL13coomvt_kernelILj1024ElffffEEv20rocsparse_operation_lNS_24const_host_device_scalarIT4_EEPKT0_S7_PKT1_PKT2_PT3_21rocsparse_index_base_b.num_agpr, 0
	.set _ZN9rocsparseL13coomvt_kernelILj1024ElffffEEv20rocsparse_operation_lNS_24const_host_device_scalarIT4_EEPKT0_S7_PKT1_PKT2_PT3_21rocsparse_index_base_b.numbered_sgpr, 16
	.set _ZN9rocsparseL13coomvt_kernelILj1024ElffffEEv20rocsparse_operation_lNS_24const_host_device_scalarIT4_EEPKT0_S7_PKT1_PKT2_PT3_21rocsparse_index_base_b.num_named_barrier, 0
	.set _ZN9rocsparseL13coomvt_kernelILj1024ElffffEEv20rocsparse_operation_lNS_24const_host_device_scalarIT4_EEPKT0_S7_PKT1_PKT2_PT3_21rocsparse_index_base_b.private_seg_size, 0
	.set _ZN9rocsparseL13coomvt_kernelILj1024ElffffEEv20rocsparse_operation_lNS_24const_host_device_scalarIT4_EEPKT0_S7_PKT1_PKT2_PT3_21rocsparse_index_base_b.uses_vcc, 1
	.set _ZN9rocsparseL13coomvt_kernelILj1024ElffffEEv20rocsparse_operation_lNS_24const_host_device_scalarIT4_EEPKT0_S7_PKT1_PKT2_PT3_21rocsparse_index_base_b.uses_flat_scratch, 0
	.set _ZN9rocsparseL13coomvt_kernelILj1024ElffffEEv20rocsparse_operation_lNS_24const_host_device_scalarIT4_EEPKT0_S7_PKT1_PKT2_PT3_21rocsparse_index_base_b.has_dyn_sized_stack, 0
	.set _ZN9rocsparseL13coomvt_kernelILj1024ElffffEEv20rocsparse_operation_lNS_24const_host_device_scalarIT4_EEPKT0_S7_PKT1_PKT2_PT3_21rocsparse_index_base_b.has_recursion, 0
	.set _ZN9rocsparseL13coomvt_kernelILj1024ElffffEEv20rocsparse_operation_lNS_24const_host_device_scalarIT4_EEPKT0_S7_PKT1_PKT2_PT3_21rocsparse_index_base_b.has_indirect_call, 0
	.section	.AMDGPU.csdata,"",@progbits
; Kernel info:
; codeLenInByte = 332
; TotalNumSgprs: 18
; NumVgprs: 9
; ScratchSize: 0
; MemoryBound: 0
; FloatMode: 240
; IeeeMode: 1
; LDSByteSize: 0 bytes/workgroup (compile time only)
; SGPRBlocks: 0
; VGPRBlocks: 0
; NumSGPRsForWavesPerEU: 18
; NumVGPRsForWavesPerEU: 9
; NamedBarCnt: 0
; Occupancy: 16
; WaveLimiterHint : 1
; COMPUTE_PGM_RSRC2:SCRATCH_EN: 0
; COMPUTE_PGM_RSRC2:USER_SGPR: 2
; COMPUTE_PGM_RSRC2:TRAP_HANDLER: 0
; COMPUTE_PGM_RSRC2:TGID_X_EN: 1
; COMPUTE_PGM_RSRC2:TGID_Y_EN: 0
; COMPUTE_PGM_RSRC2:TGID_Z_EN: 0
; COMPUTE_PGM_RSRC2:TIDIG_COMP_CNT: 0
	.section	.text._ZN9rocsparseL19coomvn_atomic_loopsILj256ELj1ElffffEEvlNS_24const_host_device_scalarIT5_EEPKT1_S6_PKT2_PKT3_PT4_21rocsparse_index_base_b,"axG",@progbits,_ZN9rocsparseL19coomvn_atomic_loopsILj256ELj1ElffffEEvlNS_24const_host_device_scalarIT5_EEPKT1_S6_PKT2_PKT3_PT4_21rocsparse_index_base_b,comdat
	.globl	_ZN9rocsparseL19coomvn_atomic_loopsILj256ELj1ElffffEEvlNS_24const_host_device_scalarIT5_EEPKT1_S6_PKT2_PKT3_PT4_21rocsparse_index_base_b ; -- Begin function _ZN9rocsparseL19coomvn_atomic_loopsILj256ELj1ElffffEEvlNS_24const_host_device_scalarIT5_EEPKT1_S6_PKT2_PKT3_PT4_21rocsparse_index_base_b
	.p2align	8
	.type	_ZN9rocsparseL19coomvn_atomic_loopsILj256ELj1ElffffEEvlNS_24const_host_device_scalarIT5_EEPKT1_S6_PKT2_PKT3_PT4_21rocsparse_index_base_b,@function
_ZN9rocsparseL19coomvn_atomic_loopsILj256ELj1ElffffEEvlNS_24const_host_device_scalarIT5_EEPKT1_S6_PKT2_PKT3_PT4_21rocsparse_index_base_b: ; @_ZN9rocsparseL19coomvn_atomic_loopsILj256ELj1ElffffEEvlNS_24const_host_device_scalarIT5_EEPKT1_S6_PKT2_PKT3_PT4_21rocsparse_index_base_b
; %bb.0:
	s_clause 0x1
	s_load_b64 s[2:3], s[0:1], 0x38
	s_load_b128 s[4:7], s[0:1], 0x0
	s_wait_kmcnt 0x0
	s_bitcmp1_b32 s3, 0
	s_cselect_b32 s3, -1, 0
	s_delay_alu instid0(SALU_CYCLE_1)
	s_and_b32 vcc_lo, exec_lo, s3
	s_cbranch_vccnz .LBB10_2
; %bb.1:
	s_load_b32 s6, s[6:7], 0x0
.LBB10_2:
	s_wait_kmcnt 0x0
	s_cmp_eq_f32 s6, 0
	s_cbranch_scc1 .LBB10_42
; %bb.3:
	s_bfe_u32 s3, ttmp6, 0x4000c
	s_and_b32 s7, ttmp6, 15
	s_add_co_i32 s3, s3, 1
	s_getreg_b32 s8, hwreg(HW_REG_IB_STS2, 6, 4)
	s_mul_i32 s3, ttmp9, s3
	v_mov_b32_e32 v3, 0
	s_add_co_i32 s7, s7, s3
	s_cmp_eq_u32 s8, 0
	v_mov_b64_e32 v[4:5], -1
	s_cselect_b32 s3, ttmp9, s7
	s_delay_alu instid0(SALU_CYCLE_1) | instskip(NEXT) | instid1(VALU_DEP_1)
	v_lshl_or_b32 v2, s3, 8, v0
	v_cmp_gt_i64_e32 vcc_lo, s[4:5], v[2:3]
	s_and_saveexec_b32 s4, vcc_lo
	s_cbranch_execz .LBB10_5
; %bb.4:
	s_load_b256 s[8:15], s[0:1], 0x10
	v_lshlrev_b64_e32 v[4:5], 3, v[2:3]
	s_mov_b32 s3, 0
	s_wait_kmcnt 0x0
	s_delay_alu instid0(VALU_DEP_1)
	v_add_nc_u64_e32 v[6:7], s[10:11], v[4:5]
	v_add_nc_u64_e32 v[4:5], s[8:9], v[4:5]
	v_lshl_add_u64 v[2:3], v[2:3], 2, s[12:13]
	global_load_b64 v[6:7], v[6:7], off th:TH_LOAD_NT
	s_wait_loadcnt 0x0
	v_sub_nc_u64_e64 v[6:7], v[6:7], s[2:3]
	s_delay_alu instid0(VALU_DEP_1)
	v_lshl_add_u64 v[6:7], v[6:7], 2, s[14:15]
	global_load_b64 v[8:9], v[4:5], off th:TH_LOAD_NT
	global_load_b32 v1, v[2:3], off th:TH_LOAD_NT
	global_load_b32 v10, v[6:7], off
	s_wait_loadcnt 0x2
	s_wait_xcnt 0x2
	v_sub_nc_u64_e64 v[4:5], v[8:9], s[2:3]
	s_wait_loadcnt 0x0
	v_mul_f32_e32 v3, v1, v10
.LBB10_5:
	s_or_b32 exec_lo, exec_lo, s4
	v_dual_lshlrev_b32 v6, 2, v0 :: v_dual_lshlrev_b32 v1, 3, v0
	s_mov_b32 s2, exec_lo
	ds_store_b64 v1, v[4:5]
	ds_store_b32 v6, v3 offset:2048
	v_or_b32_e32 v2, 0x800, v6
	s_wait_dscnt 0x0
	s_barrier_signal -1
	s_barrier_wait -1
	v_cmpx_ne_u32_e32 0, v0
	s_cbranch_execz .LBB10_9
; %bb.6:
	v_add_nc_u32_e32 v6, -8, v1
	s_mov_b32 s3, exec_lo
	ds_load_b64 v[6:7], v6
	s_wait_dscnt 0x0
	v_cmpx_eq_u64_e64 v[4:5], v[6:7]
	s_cbranch_execz .LBB10_8
; %bb.7:
	v_add_nc_u32_e32 v6, -4, v2
	ds_load_b32 v6, v6
	s_wait_dscnt 0x0
	v_add_f32_e32 v3, v3, v6
.LBB10_8:
	s_or_b32 exec_lo, exec_lo, s3
.LBB10_9:
	s_delay_alu instid0(SALU_CYCLE_1) | instskip(NEXT) | instid1(SALU_CYCLE_1)
	s_or_b32 exec_lo, exec_lo, s2
	s_mov_b32 s2, exec_lo
	s_barrier_signal -1
	s_barrier_wait -1
	ds_store_b32 v2, v3
	s_wait_dscnt 0x0
	s_barrier_signal -1
	s_barrier_wait -1
	v_cmpx_lt_u32_e32 1, v0
	s_cbranch_execz .LBB10_13
; %bb.10:
	v_add_nc_u32_e32 v6, -16, v1
	s_mov_b32 s3, exec_lo
	ds_load_b64 v[6:7], v6
	s_wait_dscnt 0x0
	v_cmpx_eq_u64_e64 v[4:5], v[6:7]
	s_cbranch_execz .LBB10_12
; %bb.11:
	v_add_nc_u32_e32 v6, -8, v2
	ds_load_b32 v6, v6
	s_wait_dscnt 0x0
	v_add_f32_e32 v3, v3, v6
.LBB10_12:
	s_or_b32 exec_lo, exec_lo, s3
.LBB10_13:
	s_delay_alu instid0(SALU_CYCLE_1) | instskip(NEXT) | instid1(SALU_CYCLE_1)
	s_or_b32 exec_lo, exec_lo, s2
	s_mov_b32 s2, exec_lo
	s_barrier_signal -1
	s_barrier_wait -1
	ds_store_b32 v2, v3
	s_wait_dscnt 0x0
	s_barrier_signal -1
	s_barrier_wait -1
	v_cmpx_lt_u32_e32 3, v0
	s_cbranch_execz .LBB10_17
; %bb.14:
	v_subrev_nc_u32_e32 v6, 32, v1
	s_mov_b32 s3, exec_lo
	ds_load_b64 v[6:7], v6
	s_wait_dscnt 0x0
	v_cmpx_eq_u64_e64 v[4:5], v[6:7]
	s_cbranch_execz .LBB10_16
; %bb.15:
	v_add_nc_u32_e32 v6, -16, v2
	ds_load_b32 v6, v6
	s_wait_dscnt 0x0
	v_add_f32_e32 v3, v3, v6
.LBB10_16:
	s_or_b32 exec_lo, exec_lo, s3
.LBB10_17:
	s_delay_alu instid0(SALU_CYCLE_1) | instskip(NEXT) | instid1(SALU_CYCLE_1)
	s_or_b32 exec_lo, exec_lo, s2
	s_mov_b32 s2, exec_lo
	s_barrier_signal -1
	s_barrier_wait -1
	ds_store_b32 v2, v3
	s_wait_dscnt 0x0
	s_barrier_signal -1
	s_barrier_wait -1
	v_cmpx_lt_u32_e32 7, v0
	s_cbranch_execz .LBB10_21
; %bb.18:
	v_subrev_nc_u32_e32 v6, 64, v1
	s_mov_b32 s3, exec_lo
	ds_load_b64 v[6:7], v6
	s_wait_dscnt 0x0
	v_cmpx_eq_u64_e64 v[4:5], v[6:7]
	s_cbranch_execz .LBB10_20
; %bb.19:
	v_subrev_nc_u32_e32 v6, 32, v2
	ds_load_b32 v6, v6
	s_wait_dscnt 0x0
	v_add_f32_e32 v3, v3, v6
.LBB10_20:
	s_or_b32 exec_lo, exec_lo, s3
.LBB10_21:
	s_delay_alu instid0(SALU_CYCLE_1) | instskip(NEXT) | instid1(SALU_CYCLE_1)
	s_or_b32 exec_lo, exec_lo, s2
	s_mov_b32 s2, exec_lo
	s_barrier_signal -1
	s_barrier_wait -1
	ds_store_b32 v2, v3
	s_wait_dscnt 0x0
	s_barrier_signal -1
	s_barrier_wait -1
	v_cmpx_lt_u32_e32 15, v0
	s_cbranch_execz .LBB10_25
; %bb.22:
	v_add_nc_u32_e32 v6, 0xffffff80, v1
	s_mov_b32 s3, exec_lo
	ds_load_b64 v[6:7], v6
	s_wait_dscnt 0x0
	v_cmpx_eq_u64_e64 v[4:5], v[6:7]
	s_cbranch_execz .LBB10_24
; %bb.23:
	v_subrev_nc_u32_e32 v6, 64, v2
	ds_load_b32 v6, v6
	s_wait_dscnt 0x0
	v_add_f32_e32 v3, v3, v6
.LBB10_24:
	s_or_b32 exec_lo, exec_lo, s3
.LBB10_25:
	s_delay_alu instid0(SALU_CYCLE_1) | instskip(NEXT) | instid1(SALU_CYCLE_1)
	s_or_b32 exec_lo, exec_lo, s2
	s_mov_b32 s2, exec_lo
	s_barrier_signal -1
	s_barrier_wait -1
	ds_store_b32 v2, v3
	s_wait_dscnt 0x0
	s_barrier_signal -1
	s_barrier_wait -1
	v_cmpx_lt_u32_e32 31, v0
	s_cbranch_execz .LBB10_29
; %bb.26:
	v_add_nc_u32_e32 v6, 0xffffff00, v1
	s_mov_b32 s3, exec_lo
	ds_load_b64 v[6:7], v6
	s_wait_dscnt 0x0
	v_cmpx_eq_u64_e64 v[4:5], v[6:7]
	s_cbranch_execz .LBB10_28
; %bb.27:
	v_add_nc_u32_e32 v6, 0xffffff80, v2
	ds_load_b32 v6, v6
	s_wait_dscnt 0x0
	v_add_f32_e32 v3, v3, v6
.LBB10_28:
	s_or_b32 exec_lo, exec_lo, s3
.LBB10_29:
	s_delay_alu instid0(SALU_CYCLE_1) | instskip(NEXT) | instid1(SALU_CYCLE_1)
	s_or_b32 exec_lo, exec_lo, s2
	s_mov_b32 s2, exec_lo
	s_barrier_signal -1
	s_barrier_wait -1
	ds_store_b32 v2, v3
	s_wait_dscnt 0x0
	s_barrier_signal -1
	s_barrier_wait -1
	v_cmpx_lt_u32_e32 63, v0
	s_cbranch_execz .LBB10_33
; %bb.30:
	v_add_nc_u32_e32 v6, 0xfffffe00, v1
	s_mov_b32 s3, exec_lo
	ds_load_b64 v[6:7], v6
	s_wait_dscnt 0x0
	v_cmpx_eq_u64_e64 v[4:5], v[6:7]
	s_cbranch_execz .LBB10_32
; %bb.31:
	v_add_nc_u32_e32 v6, 0xffffff00, v2
	ds_load_b32 v6, v6
	s_wait_dscnt 0x0
	v_add_f32_e32 v3, v3, v6
.LBB10_32:
	s_or_b32 exec_lo, exec_lo, s3
.LBB10_33:
	;; [unrolled: 26-line block ×3, first 2 shown]
	s_delay_alu instid0(SALU_CYCLE_1)
	s_or_b32 exec_lo, exec_lo, s2
	s_load_b64 s[2:3], s[0:1], 0x30
	s_wait_xcnt 0x0
	s_mov_b32 s1, exec_lo
	s_barrier_signal -1
	s_barrier_wait -1
	ds_store_b32 v2, v3
	s_wait_dscnt 0x0
	s_barrier_signal -1
	s_barrier_wait -1
	v_cmpx_gt_u32_e32 0xff, v0
	s_cbranch_execz .LBB10_40
; %bb.38:
	ds_load_b64 v[6:7], v1 offset:8
	v_cmp_lt_i64_e64 s0, -1, v[4:5]
	s_wait_dscnt 0x0
	v_cmp_ne_u64_e32 vcc_lo, v[4:5], v[6:7]
	s_and_b32 s0, s0, vcc_lo
	s_delay_alu instid0(SALU_CYCLE_1)
	s_and_b32 exec_lo, exec_lo, s0
	s_cbranch_execz .LBB10_40
; %bb.39:
	s_wait_kmcnt 0x0
	v_lshl_add_u64 v[6:7], v[4:5], 2, s[2:3]
	v_mul_f32_e32 v1, s6, v3
	global_atomic_add_f32 v[6:7], v1, off scope:SCOPE_DEV
.LBB10_40:
	s_wait_xcnt 0x0
	s_or_b32 exec_lo, exec_lo, s1
	v_cmp_lt_i64_e32 vcc_lo, -1, v[4:5]
	v_cmp_eq_u32_e64 s0, 0xff, v0
	s_and_b32 s0, s0, vcc_lo
	s_delay_alu instid0(SALU_CYCLE_1)
	s_and_saveexec_b32 s1, s0
	s_cbranch_execz .LBB10_42
; %bb.41:
	s_wait_kmcnt 0x0
	v_lshl_add_u64 v[0:1], v[4:5], 2, s[2:3]
	v_mul_f32_e32 v2, s6, v3
	global_atomic_add_f32 v[0:1], v2, off scope:SCOPE_DEV
.LBB10_42:
	s_endpgm
	.section	.rodata,"a",@progbits
	.p2align	6, 0x0
	.amdhsa_kernel _ZN9rocsparseL19coomvn_atomic_loopsILj256ELj1ElffffEEvlNS_24const_host_device_scalarIT5_EEPKT1_S6_PKT2_PKT3_PT4_21rocsparse_index_base_b
		.amdhsa_group_segment_fixed_size 3072
		.amdhsa_private_segment_fixed_size 0
		.amdhsa_kernarg_size 64
		.amdhsa_user_sgpr_count 2
		.amdhsa_user_sgpr_dispatch_ptr 0
		.amdhsa_user_sgpr_queue_ptr 0
		.amdhsa_user_sgpr_kernarg_segment_ptr 1
		.amdhsa_user_sgpr_dispatch_id 0
		.amdhsa_user_sgpr_kernarg_preload_length 0
		.amdhsa_user_sgpr_kernarg_preload_offset 0
		.amdhsa_user_sgpr_private_segment_size 0
		.amdhsa_wavefront_size32 1
		.amdhsa_uses_dynamic_stack 0
		.amdhsa_enable_private_segment 0
		.amdhsa_system_sgpr_workgroup_id_x 1
		.amdhsa_system_sgpr_workgroup_id_y 0
		.amdhsa_system_sgpr_workgroup_id_z 0
		.amdhsa_system_sgpr_workgroup_info 0
		.amdhsa_system_vgpr_workitem_id 0
		.amdhsa_next_free_vgpr 11
		.amdhsa_next_free_sgpr 16
		.amdhsa_named_barrier_count 0
		.amdhsa_reserve_vcc 1
		.amdhsa_float_round_mode_32 0
		.amdhsa_float_round_mode_16_64 0
		.amdhsa_float_denorm_mode_32 3
		.amdhsa_float_denorm_mode_16_64 3
		.amdhsa_fp16_overflow 0
		.amdhsa_memory_ordered 1
		.amdhsa_forward_progress 1
		.amdhsa_inst_pref_size 11
		.amdhsa_round_robin_scheduling 0
		.amdhsa_exception_fp_ieee_invalid_op 0
		.amdhsa_exception_fp_denorm_src 0
		.amdhsa_exception_fp_ieee_div_zero 0
		.amdhsa_exception_fp_ieee_overflow 0
		.amdhsa_exception_fp_ieee_underflow 0
		.amdhsa_exception_fp_ieee_inexact 0
		.amdhsa_exception_int_div_zero 0
	.end_amdhsa_kernel
	.section	.text._ZN9rocsparseL19coomvn_atomic_loopsILj256ELj1ElffffEEvlNS_24const_host_device_scalarIT5_EEPKT1_S6_PKT2_PKT3_PT4_21rocsparse_index_base_b,"axG",@progbits,_ZN9rocsparseL19coomvn_atomic_loopsILj256ELj1ElffffEEvlNS_24const_host_device_scalarIT5_EEPKT1_S6_PKT2_PKT3_PT4_21rocsparse_index_base_b,comdat
.Lfunc_end10:
	.size	_ZN9rocsparseL19coomvn_atomic_loopsILj256ELj1ElffffEEvlNS_24const_host_device_scalarIT5_EEPKT1_S6_PKT2_PKT3_PT4_21rocsparse_index_base_b, .Lfunc_end10-_ZN9rocsparseL19coomvn_atomic_loopsILj256ELj1ElffffEEvlNS_24const_host_device_scalarIT5_EEPKT1_S6_PKT2_PKT3_PT4_21rocsparse_index_base_b
                                        ; -- End function
	.set _ZN9rocsparseL19coomvn_atomic_loopsILj256ELj1ElffffEEvlNS_24const_host_device_scalarIT5_EEPKT1_S6_PKT2_PKT3_PT4_21rocsparse_index_base_b.num_vgpr, 11
	.set _ZN9rocsparseL19coomvn_atomic_loopsILj256ELj1ElffffEEvlNS_24const_host_device_scalarIT5_EEPKT1_S6_PKT2_PKT3_PT4_21rocsparse_index_base_b.num_agpr, 0
	.set _ZN9rocsparseL19coomvn_atomic_loopsILj256ELj1ElffffEEvlNS_24const_host_device_scalarIT5_EEPKT1_S6_PKT2_PKT3_PT4_21rocsparse_index_base_b.numbered_sgpr, 16
	.set _ZN9rocsparseL19coomvn_atomic_loopsILj256ELj1ElffffEEvlNS_24const_host_device_scalarIT5_EEPKT1_S6_PKT2_PKT3_PT4_21rocsparse_index_base_b.num_named_barrier, 0
	.set _ZN9rocsparseL19coomvn_atomic_loopsILj256ELj1ElffffEEvlNS_24const_host_device_scalarIT5_EEPKT1_S6_PKT2_PKT3_PT4_21rocsparse_index_base_b.private_seg_size, 0
	.set _ZN9rocsparseL19coomvn_atomic_loopsILj256ELj1ElffffEEvlNS_24const_host_device_scalarIT5_EEPKT1_S6_PKT2_PKT3_PT4_21rocsparse_index_base_b.uses_vcc, 1
	.set _ZN9rocsparseL19coomvn_atomic_loopsILj256ELj1ElffffEEvlNS_24const_host_device_scalarIT5_EEPKT1_S6_PKT2_PKT3_PT4_21rocsparse_index_base_b.uses_flat_scratch, 0
	.set _ZN9rocsparseL19coomvn_atomic_loopsILj256ELj1ElffffEEvlNS_24const_host_device_scalarIT5_EEPKT1_S6_PKT2_PKT3_PT4_21rocsparse_index_base_b.has_dyn_sized_stack, 0
	.set _ZN9rocsparseL19coomvn_atomic_loopsILj256ELj1ElffffEEvlNS_24const_host_device_scalarIT5_EEPKT1_S6_PKT2_PKT3_PT4_21rocsparse_index_base_b.has_recursion, 0
	.set _ZN9rocsparseL19coomvn_atomic_loopsILj256ELj1ElffffEEvlNS_24const_host_device_scalarIT5_EEPKT1_S6_PKT2_PKT3_PT4_21rocsparse_index_base_b.has_indirect_call, 0
	.section	.AMDGPU.csdata,"",@progbits
; Kernel info:
; codeLenInByte = 1352
; TotalNumSgprs: 18
; NumVgprs: 11
; ScratchSize: 0
; MemoryBound: 0
; FloatMode: 240
; IeeeMode: 1
; LDSByteSize: 3072 bytes/workgroup (compile time only)
; SGPRBlocks: 0
; VGPRBlocks: 0
; NumSGPRsForWavesPerEU: 18
; NumVGPRsForWavesPerEU: 11
; NamedBarCnt: 0
; Occupancy: 16
; WaveLimiterHint : 1
; COMPUTE_PGM_RSRC2:SCRATCH_EN: 0
; COMPUTE_PGM_RSRC2:USER_SGPR: 2
; COMPUTE_PGM_RSRC2:TRAP_HANDLER: 0
; COMPUTE_PGM_RSRC2:TGID_X_EN: 1
; COMPUTE_PGM_RSRC2:TGID_Y_EN: 0
; COMPUTE_PGM_RSRC2:TGID_Z_EN: 0
; COMPUTE_PGM_RSRC2:TIDIG_COMP_CNT: 0
	.section	.text._ZN9rocsparseL19coomvn_atomic_loopsILj256ELj2ElffffEEvlNS_24const_host_device_scalarIT5_EEPKT1_S6_PKT2_PKT3_PT4_21rocsparse_index_base_b,"axG",@progbits,_ZN9rocsparseL19coomvn_atomic_loopsILj256ELj2ElffffEEvlNS_24const_host_device_scalarIT5_EEPKT1_S6_PKT2_PKT3_PT4_21rocsparse_index_base_b,comdat
	.globl	_ZN9rocsparseL19coomvn_atomic_loopsILj256ELj2ElffffEEvlNS_24const_host_device_scalarIT5_EEPKT1_S6_PKT2_PKT3_PT4_21rocsparse_index_base_b ; -- Begin function _ZN9rocsparseL19coomvn_atomic_loopsILj256ELj2ElffffEEvlNS_24const_host_device_scalarIT5_EEPKT1_S6_PKT2_PKT3_PT4_21rocsparse_index_base_b
	.p2align	8
	.type	_ZN9rocsparseL19coomvn_atomic_loopsILj256ELj2ElffffEEvlNS_24const_host_device_scalarIT5_EEPKT1_S6_PKT2_PKT3_PT4_21rocsparse_index_base_b,@function
_ZN9rocsparseL19coomvn_atomic_loopsILj256ELj2ElffffEEvlNS_24const_host_device_scalarIT5_EEPKT1_S6_PKT2_PKT3_PT4_21rocsparse_index_base_b: ; @_ZN9rocsparseL19coomvn_atomic_loopsILj256ELj2ElffffEEvlNS_24const_host_device_scalarIT5_EEPKT1_S6_PKT2_PKT3_PT4_21rocsparse_index_base_b
; %bb.0:
	s_clause 0x1
	s_load_b64 s[24:25], s[0:1], 0x38
	s_load_b128 s[20:23], s[0:1], 0x0
	s_wait_kmcnt 0x0
	s_bitcmp1_b32 s25, 0
	s_cselect_b32 s2, -1, 0
	s_delay_alu instid0(SALU_CYCLE_1)
	s_and_b32 vcc_lo, exec_lo, s2
	s_cbranch_vccnz .LBB11_2
; %bb.1:
	s_load_b32 s22, s[22:23], 0x0
.LBB11_2:
	s_wait_kmcnt 0x0
	s_cmp_eq_f32 s22, 0
	s_cbranch_scc1 .LBB11_88
; %bb.3:
	s_load_b256 s[12:19], s[0:1], 0x10
	s_bfe_u32 s2, ttmp6, 0x4000c
	s_and_b32 s3, ttmp6, 15
	s_add_co_i32 s2, s2, 1
	s_getreg_b32 s4, hwreg(HW_REG_IB_STS2, 6, 4)
	s_mul_i32 s2, ttmp9, s2
	v_mov_b32_e32 v7, 0
	s_add_co_i32 s3, s3, s2
	s_cmp_eq_u32 s4, 0
	v_mov_b64_e32 v[8:9], -1
	s_cselect_b32 s2, ttmp9, s3
	v_mov_b32_e32 v19, v7
	v_lshl_or_b32 v6, s2, 9, v0
	s_mov_b32 s2, exec_lo
	s_delay_alu instid0(VALU_DEP_1)
	v_lshlrev_b64_e32 v[4:5], 3, v[6:7]
	s_wait_kmcnt 0x0
	v_lshl_add_u64 v[2:3], v[6:7], 2, s[16:17]
	v_cmpx_gt_i64_e64 s[20:21], v[6:7]
	s_cbranch_execz .LBB11_5
; %bb.4:
	s_delay_alu instid0(VALU_DEP_3)
	v_add_nc_u64_e32 v[8:9], s[14:15], v[4:5]
	s_mov_b32 s25, 0
	v_add_nc_u64_e32 v[10:11], s[12:13], v[4:5]
	global_load_b64 v[8:9], v[8:9], off th:TH_LOAD_NT
	s_wait_loadcnt 0x0
	v_sub_nc_u64_e64 v[8:9], v[8:9], s[24:25]
	s_delay_alu instid0(VALU_DEP_1)
	v_lshl_add_u64 v[8:9], v[8:9], 2, s[18:19]
	global_load_b64 v[12:13], v[10:11], off th:TH_LOAD_NT
	global_load_b32 v1, v[2:3], off th:TH_LOAD_NT
	global_load_b32 v14, v[8:9], off
	s_wait_loadcnt 0x2
	s_wait_xcnt 0x0
	v_sub_nc_u64_e64 v[8:9], v[12:13], s[24:25]
	s_wait_loadcnt 0x0
	v_mul_f32_e32 v19, v1, v14
.LBB11_5:
	s_or_b32 exec_lo, exec_lo, s2
	v_dual_lshlrev_b32 v11, 2, v0 :: v_dual_lshlrev_b32 v1, 3, v0
	v_cmp_ne_u32_e64 s2, 0, v0
	v_cmp_eq_u32_e32 vcc_lo, 0, v0
	ds_store_b64 v1, v[8:9]
	ds_store_b32 v11, v19 offset:2048
	v_or_b32_e32 v10, 0x800, v11
	v_add_nc_u32_e32 v11, -8, v1
	s_wait_dscnt 0x0
	s_barrier_signal -1
	s_barrier_wait -1
	s_and_saveexec_b32 s4, s2
	s_cbranch_execz .LBB11_9
; %bb.6:
	ds_load_b64 v[12:13], v11
	s_mov_b32 s5, exec_lo
	s_wait_dscnt 0x0
	v_cmpx_eq_u64_e64 v[8:9], v[12:13]
	s_cbranch_execz .LBB11_8
; %bb.7:
	v_add_nc_u32_e32 v12, -4, v10
	ds_load_b32 v12, v12
	s_wait_dscnt 0x0
	v_add_f32_e32 v19, v19, v12
.LBB11_8:
	s_or_b32 exec_lo, exec_lo, s5
.LBB11_9:
	s_delay_alu instid0(SALU_CYCLE_1)
	s_or_b32 exec_lo, exec_lo, s4
	v_cmp_lt_u32_e64 s3, 1, v0
	v_add_nc_u32_e32 v12, -16, v1
	s_barrier_signal -1
	s_barrier_wait -1
	ds_store_b32 v10, v19
	s_wait_dscnt 0x0
	s_barrier_signal -1
	s_barrier_wait -1
	s_and_saveexec_b32 s5, s3
	s_cbranch_execz .LBB11_13
; %bb.10:
	ds_load_b64 v[14:15], v12
	s_mov_b32 s6, exec_lo
	s_wait_dscnt 0x0
	v_cmpx_eq_u64_e64 v[8:9], v[14:15]
	s_cbranch_execz .LBB11_12
; %bb.11:
	v_add_nc_u32_e32 v13, -8, v10
	ds_load_b32 v13, v13
	s_wait_dscnt 0x0
	v_add_f32_e32 v19, v19, v13
.LBB11_12:
	s_or_b32 exec_lo, exec_lo, s6
.LBB11_13:
	s_delay_alu instid0(SALU_CYCLE_1)
	s_or_b32 exec_lo, exec_lo, s5
	v_cmp_lt_u32_e64 s4, 3, v0
	v_subrev_nc_u32_e32 v13, 32, v1
	s_barrier_signal -1
	s_barrier_wait -1
	ds_store_b32 v10, v19
	s_wait_dscnt 0x0
	s_barrier_signal -1
	s_barrier_wait -1
	s_and_saveexec_b32 s6, s4
	s_cbranch_execz .LBB11_17
; %bb.14:
	ds_load_b64 v[14:15], v13
	s_mov_b32 s7, exec_lo
	s_wait_dscnt 0x0
	v_cmpx_eq_u64_e64 v[8:9], v[14:15]
	s_cbranch_execz .LBB11_16
; %bb.15:
	v_add_nc_u32_e32 v14, -16, v10
	ds_load_b32 v14, v14
	s_wait_dscnt 0x0
	v_add_f32_e32 v19, v19, v14
.LBB11_16:
	s_or_b32 exec_lo, exec_lo, s7
.LBB11_17:
	s_delay_alu instid0(SALU_CYCLE_1)
	s_or_b32 exec_lo, exec_lo, s6
	v_cmp_lt_u32_e64 s5, 7, v0
	v_subrev_nc_u32_e32 v14, 64, v1
	s_barrier_signal -1
	s_barrier_wait -1
	ds_store_b32 v10, v19
	s_wait_dscnt 0x0
	s_barrier_signal -1
	s_barrier_wait -1
	s_and_saveexec_b32 s7, s5
	s_cbranch_execz .LBB11_21
; %bb.18:
	ds_load_b64 v[16:17], v14
	s_mov_b32 s8, exec_lo
	s_wait_dscnt 0x0
	v_cmpx_eq_u64_e64 v[8:9], v[16:17]
	s_cbranch_execz .LBB11_20
; %bb.19:
	v_subrev_nc_u32_e32 v15, 32, v10
	ds_load_b32 v15, v15
	s_wait_dscnt 0x0
	v_add_f32_e32 v19, v19, v15
.LBB11_20:
	s_or_b32 exec_lo, exec_lo, s8
.LBB11_21:
	s_delay_alu instid0(SALU_CYCLE_1)
	s_or_b32 exec_lo, exec_lo, s7
	v_cmp_lt_u32_e64 s6, 15, v0
	v_add_nc_u32_e32 v15, 0xffffff80, v1
	s_barrier_signal -1
	s_barrier_wait -1
	ds_store_b32 v10, v19
	s_wait_dscnt 0x0
	s_barrier_signal -1
	s_barrier_wait -1
	s_and_saveexec_b32 s8, s6
	s_cbranch_execz .LBB11_25
; %bb.22:
	ds_load_b64 v[16:17], v15
	s_mov_b32 s9, exec_lo
	s_wait_dscnt 0x0
	v_cmpx_eq_u64_e64 v[8:9], v[16:17]
	s_cbranch_execz .LBB11_24
; %bb.23:
	v_subrev_nc_u32_e32 v16, 64, v10
	ds_load_b32 v16, v16
	s_wait_dscnt 0x0
	v_add_f32_e32 v19, v19, v16
.LBB11_24:
	s_or_b32 exec_lo, exec_lo, s9
.LBB11_25:
	s_delay_alu instid0(SALU_CYCLE_1)
	s_or_b32 exec_lo, exec_lo, s8
	v_cmp_lt_u32_e64 s7, 31, v0
	v_add_nc_u32_e32 v16, 0xffffff00, v1
	s_barrier_signal -1
	s_barrier_wait -1
	ds_store_b32 v10, v19
	s_wait_dscnt 0x0
	s_barrier_signal -1
	s_barrier_wait -1
	s_and_saveexec_b32 s9, s7
	s_cbranch_execz .LBB11_29
; %bb.26:
	ds_load_b64 v[20:21], v16
	s_mov_b32 s10, exec_lo
	s_wait_dscnt 0x0
	v_cmpx_eq_u64_e64 v[8:9], v[20:21]
	s_cbranch_execz .LBB11_28
; %bb.27:
	v_add_nc_u32_e32 v17, 0xffffff80, v10
	ds_load_b32 v17, v17
	s_wait_dscnt 0x0
	v_add_f32_e32 v19, v19, v17
.LBB11_28:
	s_or_b32 exec_lo, exec_lo, s10
.LBB11_29:
	s_delay_alu instid0(SALU_CYCLE_1)
	s_or_b32 exec_lo, exec_lo, s9
	v_cmp_lt_u32_e64 s8, 63, v0
	v_add_nc_u32_e32 v17, 0xfffffe00, v1
	s_barrier_signal -1
	s_barrier_wait -1
	ds_store_b32 v10, v19
	s_wait_dscnt 0x0
	s_barrier_signal -1
	s_barrier_wait -1
	s_and_saveexec_b32 s10, s8
	s_cbranch_execz .LBB11_33
; %bb.30:
	ds_load_b64 v[20:21], v17
	s_mov_b32 s11, exec_lo
	s_wait_dscnt 0x0
	v_cmpx_eq_u64_e64 v[8:9], v[20:21]
	s_cbranch_execz .LBB11_32
; %bb.31:
	v_add_nc_u32_e32 v18, 0xffffff00, v10
	ds_load_b32 v18, v18
	s_wait_dscnt 0x0
	v_add_f32_e32 v19, v19, v18
.LBB11_32:
	s_or_b32 exec_lo, exec_lo, s11
.LBB11_33:
	;; [unrolled: 26-line block ×3, first 2 shown]
	s_delay_alu instid0(SALU_CYCLE_1)
	s_or_b32 exec_lo, exec_lo, s11
	s_load_b64 s[16:17], s[0:1], 0x30
	s_wait_xcnt 0x0
	v_cmp_gt_u32_e64 s0, 0xff, v0
	s_barrier_signal -1
	s_barrier_wait -1
	ds_store_b32 v10, v19
	s_wait_dscnt 0x0
	s_barrier_signal -1
	s_barrier_wait -1
	s_and_saveexec_b32 s11, s0
	s_cbranch_execz .LBB11_40
; %bb.38:
	ds_load_b64 v[20:21], v1 offset:8
	v_cmp_lt_i64_e64 s10, -1, v[8:9]
	s_wait_dscnt 0x0
	v_cmp_ne_u64_e64 s1, v[8:9], v[20:21]
	s_and_b32 s1, s10, s1
	s_delay_alu instid0(SALU_CYCLE_1)
	s_and_b32 exec_lo, exec_lo, s1
	s_cbranch_execz .LBB11_40
; %bb.39:
	s_wait_kmcnt 0x0
	v_lshl_add_u64 v[8:9], v[8:9], 2, s[16:17]
	v_mul_f32_e32 v19, s22, v19
	global_atomic_add_f32 v[8:9], v19, off scope:SCOPE_DEV
.LBB11_40:
	s_wait_xcnt 0x0
	s_or_b32 exec_lo, exec_lo, s11
	v_add_nc_u64_e32 v[6:7], 0x100, v[6:7]
	v_mov_b32_e32 v8, 0
	s_delay_alu instid0(VALU_DEP_2)
	v_cmp_gt_i64_e64 s1, s[20:21], v[6:7]
	v_mov_b64_e32 v[6:7], -1
	s_and_saveexec_b32 s10, s1
	s_cbranch_execz .LBB11_42
; %bb.41:
	v_add_nc_u64_e32 v[6:7], s[14:15], v[4:5]
	s_mov_b32 s25, 0
	v_add_nc_u64_e32 v[4:5], s[12:13], v[4:5]
	global_load_b64 v[6:7], v[6:7], off offset:2048 th:TH_LOAD_NT
	s_wait_loadcnt 0x0
	v_sub_nc_u64_e64 v[6:7], v[6:7], s[24:25]
	s_delay_alu instid0(VALU_DEP_1)
	v_lshl_add_u64 v[6:7], v[6:7], 2, s[18:19]
	global_load_b64 v[8:9], v[4:5], off offset:2048 th:TH_LOAD_NT
	global_load_b32 v19, v[2:3], off offset:1024 th:TH_LOAD_NT
	global_load_b32 v20, v[6:7], off
	s_wait_loadcnt 0x2
	s_wait_xcnt 0x0
	v_sub_nc_u64_e64 v[6:7], v[8:9], s[24:25]
	s_wait_loadcnt 0x0
	v_mul_f32_e32 v8, v19, v20
.LBB11_42:
	s_or_b32 exec_lo, exec_lo, s10
	s_and_saveexec_b32 s1, vcc_lo
	s_cbranch_execz .LBB11_51
; %bb.43:
	v_mov_b32_e32 v2, 0
	s_mov_b32 s10, exec_lo
	ds_load_b64 v[2:3], v2 offset:2040
	s_wait_dscnt 0x0
	v_cmpx_ne_u64_e64 v[6:7], v[2:3]
	s_xor_b32 s10, exec_lo, s10
	s_cbranch_execz .LBB11_48
; %bb.44:
	v_cmp_gt_i64_e32 vcc_lo, 0, v[2:3]
	s_cbranch_vccnz .LBB11_48
; %bb.45:
	s_mov_b32 s12, exec_lo
	s_mov_b32 s11, exec_lo
	v_mbcnt_lo_u32_b32 v4, s12, 0
	s_delay_alu instid0(VALU_DEP_1)
	v_cmpx_eq_u32_e32 0, v4
	s_cbranch_execz .LBB11_47
; %bb.46:
	v_mov_b32_e32 v4, 0
	v_lshlrev_b64_e32 v[2:3], 2, v[2:3]
	s_bcnt1_i32_b32 s12, s12
	s_delay_alu instid0(SALU_CYCLE_1)
	v_cvt_f32_ubyte0_e32 v5, s12
	ds_load_b32 v4, v4 offset:3068
	s_wait_kmcnt 0x0
	v_add_nc_u64_e32 v[2:3], s[16:17], v[2:3]
	s_wait_dscnt 0x0
	v_mul_f32_e32 v4, s22, v4
	s_delay_alu instid0(VALU_DEP_1)
	v_mul_f32_e32 v4, v4, v5
	global_atomic_add_f32 v[2:3], v4, off scope:SCOPE_DEV
.LBB11_47:
	s_wait_xcnt 0x0
	s_or_b32 exec_lo, exec_lo, s11
.LBB11_48:
	s_and_not1_saveexec_b32 s10, s10
	s_cbranch_execz .LBB11_50
; %bb.49:
	v_mov_b32_e32 v2, 0
	ds_load_b32 v2, v2 offset:3068
	s_wait_dscnt 0x0
	v_add_f32_e32 v8, v8, v2
.LBB11_50:
	s_or_b32 exec_lo, exec_lo, s10
.LBB11_51:
	s_delay_alu instid0(SALU_CYCLE_1)
	s_or_b32 exec_lo, exec_lo, s1
	s_wait_storecnt 0x0
	s_barrier_signal -1
	s_barrier_wait -1
	ds_store_b64 v1, v[6:7]
	ds_store_b32 v10, v8
	s_wait_dscnt 0x0
	s_barrier_signal -1
	s_barrier_wait -1
	s_and_saveexec_b32 s1, s2
	s_cbranch_execz .LBB11_55
; %bb.52:
	ds_load_b64 v[2:3], v11
	s_mov_b32 s2, exec_lo
	s_wait_dscnt 0x0
	v_cmpx_eq_u64_e64 v[6:7], v[2:3]
	s_cbranch_execz .LBB11_54
; %bb.53:
	v_add_nc_u32_e32 v2, -4, v10
	ds_load_b32 v2, v2
	s_wait_dscnt 0x0
	v_add_f32_e32 v8, v8, v2
.LBB11_54:
	s_or_b32 exec_lo, exec_lo, s2
.LBB11_55:
	s_delay_alu instid0(SALU_CYCLE_1)
	s_or_b32 exec_lo, exec_lo, s1
	s_barrier_signal -1
	s_barrier_wait -1
	ds_store_b32 v10, v8
	s_wait_dscnt 0x0
	s_barrier_signal -1
	s_barrier_wait -1
	s_and_saveexec_b32 s1, s3
	s_cbranch_execz .LBB11_59
; %bb.56:
	ds_load_b64 v[2:3], v12
	s_mov_b32 s2, exec_lo
	s_wait_dscnt 0x0
	v_cmpx_eq_u64_e64 v[6:7], v[2:3]
	s_cbranch_execz .LBB11_58
; %bb.57:
	v_add_nc_u32_e32 v2, -8, v10
	ds_load_b32 v2, v2
	s_wait_dscnt 0x0
	v_add_f32_e32 v8, v8, v2
.LBB11_58:
	s_or_b32 exec_lo, exec_lo, s2
.LBB11_59:
	s_delay_alu instid0(SALU_CYCLE_1)
	s_or_b32 exec_lo, exec_lo, s1
	s_barrier_signal -1
	s_barrier_wait -1
	;; [unrolled: 24-line block ×3, first 2 shown]
	ds_store_b32 v10, v8
	s_wait_dscnt 0x0
	s_barrier_signal -1
	s_barrier_wait -1
	s_and_saveexec_b32 s1, s5
	s_cbranch_execz .LBB11_67
; %bb.64:
	ds_load_b64 v[2:3], v14
	s_mov_b32 s2, exec_lo
	s_wait_dscnt 0x0
	v_cmpx_eq_u64_e64 v[6:7], v[2:3]
	s_cbranch_execz .LBB11_66
; %bb.65:
	v_subrev_nc_u32_e32 v2, 32, v10
	ds_load_b32 v2, v2
	s_wait_dscnt 0x0
	v_add_f32_e32 v8, v8, v2
.LBB11_66:
	s_or_b32 exec_lo, exec_lo, s2
.LBB11_67:
	s_delay_alu instid0(SALU_CYCLE_1)
	s_or_b32 exec_lo, exec_lo, s1
	s_barrier_signal -1
	s_barrier_wait -1
	ds_store_b32 v10, v8
	s_wait_dscnt 0x0
	s_barrier_signal -1
	s_barrier_wait -1
	s_and_saveexec_b32 s1, s6
	s_cbranch_execz .LBB11_71
; %bb.68:
	ds_load_b64 v[2:3], v15
	s_mov_b32 s2, exec_lo
	s_wait_dscnt 0x0
	v_cmpx_eq_u64_e64 v[6:7], v[2:3]
	s_cbranch_execz .LBB11_70
; %bb.69:
	v_subrev_nc_u32_e32 v2, 64, v10
	ds_load_b32 v2, v2
	s_wait_dscnt 0x0
	v_add_f32_e32 v8, v8, v2
.LBB11_70:
	s_or_b32 exec_lo, exec_lo, s2
.LBB11_71:
	s_delay_alu instid0(SALU_CYCLE_1)
	s_or_b32 exec_lo, exec_lo, s1
	s_barrier_signal -1
	s_barrier_wait -1
	ds_store_b32 v10, v8
	s_wait_dscnt 0x0
	s_barrier_signal -1
	s_barrier_wait -1
	s_and_saveexec_b32 s1, s7
	s_cbranch_execz .LBB11_75
; %bb.72:
	ds_load_b64 v[2:3], v16
	s_mov_b32 s2, exec_lo
	s_wait_dscnt 0x0
	v_cmpx_eq_u64_e64 v[6:7], v[2:3]
	s_cbranch_execz .LBB11_74
; %bb.73:
	v_add_nc_u32_e32 v2, 0xffffff80, v10
	ds_load_b32 v2, v2
	s_wait_dscnt 0x0
	v_add_f32_e32 v8, v8, v2
.LBB11_74:
	s_or_b32 exec_lo, exec_lo, s2
.LBB11_75:
	s_delay_alu instid0(SALU_CYCLE_1)
	s_or_b32 exec_lo, exec_lo, s1
	s_barrier_signal -1
	s_barrier_wait -1
	ds_store_b32 v10, v8
	s_wait_dscnt 0x0
	s_barrier_signal -1
	s_barrier_wait -1
	s_and_saveexec_b32 s1, s8
	s_cbranch_execz .LBB11_79
; %bb.76:
	ds_load_b64 v[2:3], v17
	s_mov_b32 s2, exec_lo
	s_wait_dscnt 0x0
	v_cmpx_eq_u64_e64 v[6:7], v[2:3]
	s_cbranch_execz .LBB11_78
; %bb.77:
	v_add_nc_u32_e32 v2, 0xffffff00, v10
	ds_load_b32 v2, v2
	s_wait_dscnt 0x0
	v_add_f32_e32 v8, v8, v2
.LBB11_78:
	s_or_b32 exec_lo, exec_lo, s2
.LBB11_79:
	;; [unrolled: 24-line block ×3, first 2 shown]
	s_delay_alu instid0(SALU_CYCLE_1)
	s_or_b32 exec_lo, exec_lo, s1
	s_barrier_signal -1
	s_barrier_wait -1
	ds_store_b32 v10, v8
	s_wait_dscnt 0x0
	s_barrier_signal -1
	s_barrier_wait -1
	s_and_saveexec_b32 s1, s0
	s_cbranch_execz .LBB11_86
; %bb.84:
	ds_load_b64 v[2:3], v1 offset:8
	v_cmp_lt_i64_e64 s0, -1, v[6:7]
	s_wait_dscnt 0x0
	v_cmp_ne_u64_e32 vcc_lo, v[6:7], v[2:3]
	s_and_b32 s0, s0, vcc_lo
	s_delay_alu instid0(SALU_CYCLE_1)
	s_and_b32 exec_lo, exec_lo, s0
	s_cbranch_execz .LBB11_86
; %bb.85:
	s_wait_kmcnt 0x0
	v_lshl_add_u64 v[2:3], v[6:7], 2, s[16:17]
	v_mul_f32_e32 v1, s22, v8
	global_atomic_add_f32 v[2:3], v1, off scope:SCOPE_DEV
.LBB11_86:
	s_wait_xcnt 0x0
	s_or_b32 exec_lo, exec_lo, s1
	v_cmp_lt_i64_e32 vcc_lo, -1, v[6:7]
	v_cmp_eq_u32_e64 s0, 0xff, v0
	s_and_b32 s0, s0, vcc_lo
	s_delay_alu instid0(SALU_CYCLE_1)
	s_and_saveexec_b32 s1, s0
	s_cbranch_execz .LBB11_88
; %bb.87:
	s_wait_kmcnt 0x0
	v_lshl_add_u64 v[0:1], v[6:7], 2, s[16:17]
	v_mul_f32_e32 v2, s22, v8
	global_atomic_add_f32 v[0:1], v2, off scope:SCOPE_DEV
.LBB11_88:
	s_endpgm
	.section	.rodata,"a",@progbits
	.p2align	6, 0x0
	.amdhsa_kernel _ZN9rocsparseL19coomvn_atomic_loopsILj256ELj2ElffffEEvlNS_24const_host_device_scalarIT5_EEPKT1_S6_PKT2_PKT3_PT4_21rocsparse_index_base_b
		.amdhsa_group_segment_fixed_size 3072
		.amdhsa_private_segment_fixed_size 0
		.amdhsa_kernarg_size 64
		.amdhsa_user_sgpr_count 2
		.amdhsa_user_sgpr_dispatch_ptr 0
		.amdhsa_user_sgpr_queue_ptr 0
		.amdhsa_user_sgpr_kernarg_segment_ptr 1
		.amdhsa_user_sgpr_dispatch_id 0
		.amdhsa_user_sgpr_kernarg_preload_length 0
		.amdhsa_user_sgpr_kernarg_preload_offset 0
		.amdhsa_user_sgpr_private_segment_size 0
		.amdhsa_wavefront_size32 1
		.amdhsa_uses_dynamic_stack 0
		.amdhsa_enable_private_segment 0
		.amdhsa_system_sgpr_workgroup_id_x 1
		.amdhsa_system_sgpr_workgroup_id_y 0
		.amdhsa_system_sgpr_workgroup_id_z 0
		.amdhsa_system_sgpr_workgroup_info 0
		.amdhsa_system_vgpr_workitem_id 0
		.amdhsa_next_free_vgpr 22
		.amdhsa_next_free_sgpr 26
		.amdhsa_named_barrier_count 0
		.amdhsa_reserve_vcc 1
		.amdhsa_float_round_mode_32 0
		.amdhsa_float_round_mode_16_64 0
		.amdhsa_float_denorm_mode_32 3
		.amdhsa_float_denorm_mode_16_64 3
		.amdhsa_fp16_overflow 0
		.amdhsa_memory_ordered 1
		.amdhsa_forward_progress 1
		.amdhsa_inst_pref_size 21
		.amdhsa_round_robin_scheduling 0
		.amdhsa_exception_fp_ieee_invalid_op 0
		.amdhsa_exception_fp_denorm_src 0
		.amdhsa_exception_fp_ieee_div_zero 0
		.amdhsa_exception_fp_ieee_overflow 0
		.amdhsa_exception_fp_ieee_underflow 0
		.amdhsa_exception_fp_ieee_inexact 0
		.amdhsa_exception_int_div_zero 0
	.end_amdhsa_kernel
	.section	.text._ZN9rocsparseL19coomvn_atomic_loopsILj256ELj2ElffffEEvlNS_24const_host_device_scalarIT5_EEPKT1_S6_PKT2_PKT3_PT4_21rocsparse_index_base_b,"axG",@progbits,_ZN9rocsparseL19coomvn_atomic_loopsILj256ELj2ElffffEEvlNS_24const_host_device_scalarIT5_EEPKT1_S6_PKT2_PKT3_PT4_21rocsparse_index_base_b,comdat
.Lfunc_end11:
	.size	_ZN9rocsparseL19coomvn_atomic_loopsILj256ELj2ElffffEEvlNS_24const_host_device_scalarIT5_EEPKT1_S6_PKT2_PKT3_PT4_21rocsparse_index_base_b, .Lfunc_end11-_ZN9rocsparseL19coomvn_atomic_loopsILj256ELj2ElffffEEvlNS_24const_host_device_scalarIT5_EEPKT1_S6_PKT2_PKT3_PT4_21rocsparse_index_base_b
                                        ; -- End function
	.set _ZN9rocsparseL19coomvn_atomic_loopsILj256ELj2ElffffEEvlNS_24const_host_device_scalarIT5_EEPKT1_S6_PKT2_PKT3_PT4_21rocsparse_index_base_b.num_vgpr, 22
	.set _ZN9rocsparseL19coomvn_atomic_loopsILj256ELj2ElffffEEvlNS_24const_host_device_scalarIT5_EEPKT1_S6_PKT2_PKT3_PT4_21rocsparse_index_base_b.num_agpr, 0
	.set _ZN9rocsparseL19coomvn_atomic_loopsILj256ELj2ElffffEEvlNS_24const_host_device_scalarIT5_EEPKT1_S6_PKT2_PKT3_PT4_21rocsparse_index_base_b.numbered_sgpr, 26
	.set _ZN9rocsparseL19coomvn_atomic_loopsILj256ELj2ElffffEEvlNS_24const_host_device_scalarIT5_EEPKT1_S6_PKT2_PKT3_PT4_21rocsparse_index_base_b.num_named_barrier, 0
	.set _ZN9rocsparseL19coomvn_atomic_loopsILj256ELj2ElffffEEvlNS_24const_host_device_scalarIT5_EEPKT1_S6_PKT2_PKT3_PT4_21rocsparse_index_base_b.private_seg_size, 0
	.set _ZN9rocsparseL19coomvn_atomic_loopsILj256ELj2ElffffEEvlNS_24const_host_device_scalarIT5_EEPKT1_S6_PKT2_PKT3_PT4_21rocsparse_index_base_b.uses_vcc, 1
	.set _ZN9rocsparseL19coomvn_atomic_loopsILj256ELj2ElffffEEvlNS_24const_host_device_scalarIT5_EEPKT1_S6_PKT2_PKT3_PT4_21rocsparse_index_base_b.uses_flat_scratch, 0
	.set _ZN9rocsparseL19coomvn_atomic_loopsILj256ELj2ElffffEEvlNS_24const_host_device_scalarIT5_EEPKT1_S6_PKT2_PKT3_PT4_21rocsparse_index_base_b.has_dyn_sized_stack, 0
	.set _ZN9rocsparseL19coomvn_atomic_loopsILj256ELj2ElffffEEvlNS_24const_host_device_scalarIT5_EEPKT1_S6_PKT2_PKT3_PT4_21rocsparse_index_base_b.has_recursion, 0
	.set _ZN9rocsparseL19coomvn_atomic_loopsILj256ELj2ElffffEEvlNS_24const_host_device_scalarIT5_EEPKT1_S6_PKT2_PKT3_PT4_21rocsparse_index_base_b.has_indirect_call, 0
	.section	.AMDGPU.csdata,"",@progbits
; Kernel info:
; codeLenInByte = 2648
; TotalNumSgprs: 28
; NumVgprs: 22
; ScratchSize: 0
; MemoryBound: 0
; FloatMode: 240
; IeeeMode: 1
; LDSByteSize: 3072 bytes/workgroup (compile time only)
; SGPRBlocks: 0
; VGPRBlocks: 1
; NumSGPRsForWavesPerEU: 28
; NumVGPRsForWavesPerEU: 22
; NamedBarCnt: 0
; Occupancy: 16
; WaveLimiterHint : 1
; COMPUTE_PGM_RSRC2:SCRATCH_EN: 0
; COMPUTE_PGM_RSRC2:USER_SGPR: 2
; COMPUTE_PGM_RSRC2:TRAP_HANDLER: 0
; COMPUTE_PGM_RSRC2:TGID_X_EN: 1
; COMPUTE_PGM_RSRC2:TGID_Y_EN: 0
; COMPUTE_PGM_RSRC2:TGID_Z_EN: 0
; COMPUTE_PGM_RSRC2:TIDIG_COMP_CNT: 0
	.section	.text._ZN9rocsparseL22coomvn_segmented_loopsILj256EiddddEEvlT0_NS_24const_host_device_scalarIT4_EEPKS1_S6_PKT1_PKT2_PT3_PS1_PS3_21rocsparse_index_base_b,"axG",@progbits,_ZN9rocsparseL22coomvn_segmented_loopsILj256EiddddEEvlT0_NS_24const_host_device_scalarIT4_EEPKS1_S6_PKT1_PKT2_PT3_PS1_PS3_21rocsparse_index_base_b,comdat
	.globl	_ZN9rocsparseL22coomvn_segmented_loopsILj256EiddddEEvlT0_NS_24const_host_device_scalarIT4_EEPKS1_S6_PKT1_PKT2_PT3_PS1_PS3_21rocsparse_index_base_b ; -- Begin function _ZN9rocsparseL22coomvn_segmented_loopsILj256EiddddEEvlT0_NS_24const_host_device_scalarIT4_EEPKS1_S6_PKT1_PKT2_PT3_PS1_PS3_21rocsparse_index_base_b
	.p2align	8
	.type	_ZN9rocsparseL22coomvn_segmented_loopsILj256EiddddEEvlT0_NS_24const_host_device_scalarIT4_EEPKS1_S6_PKT1_PKT2_PT3_PS1_PS3_21rocsparse_index_base_b,@function
_ZN9rocsparseL22coomvn_segmented_loopsILj256EiddddEEvlT0_NS_24const_host_device_scalarIT4_EEPKS1_S6_PKT1_PKT2_PT3_PS1_PS3_21rocsparse_index_base_b: ; @_ZN9rocsparseL22coomvn_segmented_loopsILj256EiddddEEvlT0_NS_24const_host_device_scalarIT4_EEPKS1_S6_PKT1_PKT2_PT3_PS1_PS3_21rocsparse_index_base_b
; %bb.0:
	s_clause 0x1
	s_load_b64 s[28:29], s[0:1], 0x50
	s_load_b64 s[2:3], s[0:1], 0x10
	s_wait_kmcnt 0x0
	s_bitcmp1_b32 s29, 0
	v_mov_b64_e32 v[2:3], s[2:3]
	s_cselect_b32 s4, -1, 0
	s_delay_alu instid0(SALU_CYCLE_1)
	s_and_b32 vcc_lo, exec_lo, s4
	s_cbranch_vccnz .LBB12_2
; %bb.1:
	v_mov_b32_e32 v1, 0
	flat_load_b64 v[2:3], v1, s[2:3]
.LBB12_2:
	s_wait_xcnt 0x0
	s_mov_b32 s2, exec_lo
	s_wait_loadcnt_dscnt 0x0
	v_cmpx_neq_f64_e32 0, v[2:3]
	s_cbranch_execz .LBB12_89
; %bb.3:
	s_clause 0x1
	s_load_b96 s[24:26], s[0:1], 0x0
	s_load_b256 s[16:23], s[0:1], 0x18
	s_bfe_u32 s2, ttmp6, 0x4000c
	s_and_b32 s3, ttmp6, 15
	s_add_co_i32 s2, s2, 1
	s_getreg_b32 s4, hwreg(HW_REG_IB_STS2, 6, 4)
	s_mul_i32 s2, ttmp9, s2
	v_dual_mov_b32 v7, 0 :: v_dual_mov_b32 v16, -1
	s_add_co_i32 s3, s3, s2
	s_cmp_eq_u32 s4, 0
	v_mov_b64_e32 v[4:5], 0
	s_cselect_b32 s27, ttmp9, s3
	s_wait_kmcnt 0x0
	s_mul_i32 s2, s27, s26
	s_delay_alu instid0(SALU_CYCLE_1) | instskip(SKIP_1) | instid1(VALU_DEP_1)
	v_lshl_or_b32 v6, s2, 8, v0
	s_mov_b32 s2, exec_lo
	v_lshl_add_u64 v[8:9], v[6:7], 3, s[20:21]
	v_cmpx_gt_i64_e64 s[24:25], v[6:7]
	s_cbranch_execz .LBB12_5
; %bb.4:
	v_lshlrev_b64_e32 v[4:5], 2, v[6:7]
	s_ashr_i32 s29, s28, 31
	s_delay_alu instid0(SALU_CYCLE_1) | instskip(NEXT) | instid1(VALU_DEP_1)
	s_lshl_b64 s[4:5], s[28:29], 3
	v_add_nc_u64_e32 v[10:11], s[18:19], v[4:5]
	v_add_nc_u64_e32 v[4:5], s[16:17], v[4:5]
	global_load_b32 v10, v[10:11], off th:TH_LOAD_NT
	s_wait_loadcnt 0x0
	v_ashrrev_i32_e32 v11, 31, v10
	s_delay_alu instid0(VALU_DEP_1) | instskip(NEXT) | instid1(VALU_DEP_1)
	v_lshl_add_u64 v[10:11], v[10:11], 3, s[22:23]
	v_sub_nc_u64_e64 v[10:11], v[10:11], s[4:5]
	global_load_b64 v[12:13], v[8:9], off th:TH_LOAD_NT
	global_load_b64 v[14:15], v[10:11], off
	global_load_b32 v1, v[4:5], off th:TH_LOAD_NT
	s_wait_loadcnt 0x1
	s_wait_xcnt 0x0
	v_mul_f64_e32 v[4:5], v[12:13], v[14:15]
	s_wait_loadcnt 0x0
	v_subrev_nc_u32_e32 v16, s28, v1
.LBB12_5:
	s_or_b32 exec_lo, exec_lo, s2
	v_dual_lshlrev_b32 v10, 2, v0 :: v_dual_lshlrev_b32 v1, 3, v0
	v_cmp_eq_u32_e64 s2, 0, v0
	v_cmp_ne_u32_e64 s3, 0, v0
	ds_store_b32 v10, v16 offset:2048
	ds_store_b64 v1, v[4:5]
	v_or_b32_e32 v14, 0x800, v10
	s_wait_dscnt 0x0
	s_barrier_signal -1
	s_barrier_wait -1
	s_delay_alu instid0(VALU_DEP_1)
	v_add_nc_u32_e32 v15, -4, v14
	s_and_saveexec_b32 s4, s3
	s_cbranch_execz .LBB12_9
; %bb.6:
	ds_load_b32 v10, v15
	s_mov_b32 s5, exec_lo
	s_wait_dscnt 0x0
	v_cmpx_eq_u32_e64 v16, v10
	s_cbranch_execz .LBB12_8
; %bb.7:
	v_add_nc_u32_e32 v10, -8, v1
	ds_load_b64 v[10:11], v10
	s_wait_dscnt 0x0
	v_add_f64_e32 v[4:5], v[4:5], v[10:11]
.LBB12_8:
	s_or_b32 exec_lo, exec_lo, s5
.LBB12_9:
	s_delay_alu instid0(SALU_CYCLE_1)
	s_or_b32 exec_lo, exec_lo, s4
	v_cmp_lt_u32_e64 s4, 1, v0
	v_add_nc_u32_e32 v17, -8, v14
	s_barrier_signal -1
	s_barrier_wait -1
	ds_store_b64 v1, v[4:5]
	s_wait_dscnt 0x0
	s_barrier_signal -1
	s_barrier_wait -1
	s_and_saveexec_b32 s5, s4
	s_cbranch_execz .LBB12_13
; %bb.10:
	ds_load_b32 v10, v17
	s_mov_b32 s6, exec_lo
	s_wait_dscnt 0x0
	v_cmpx_eq_u32_e64 v16, v10
	s_cbranch_execz .LBB12_12
; %bb.11:
	v_add_nc_u32_e32 v10, -16, v1
	ds_load_b64 v[10:11], v10
	s_wait_dscnt 0x0
	v_add_f64_e32 v[4:5], v[4:5], v[10:11]
.LBB12_12:
	s_or_b32 exec_lo, exec_lo, s6
.LBB12_13:
	s_delay_alu instid0(SALU_CYCLE_1)
	s_or_b32 exec_lo, exec_lo, s5
	v_cmp_lt_u32_e64 s5, 3, v0
	v_add_nc_u32_e32 v18, -16, v14
	s_barrier_signal -1
	s_barrier_wait -1
	ds_store_b64 v1, v[4:5]
	s_wait_dscnt 0x0
	s_barrier_signal -1
	s_barrier_wait -1
	s_and_saveexec_b32 s6, s5
	s_cbranch_execz .LBB12_17
; %bb.14:
	ds_load_b32 v10, v18
	s_mov_b32 s7, exec_lo
	s_wait_dscnt 0x0
	v_cmpx_eq_u32_e64 v16, v10
	s_cbranch_execz .LBB12_16
; %bb.15:
	v_subrev_nc_u32_e32 v10, 32, v1
	ds_load_b64 v[10:11], v10
	s_wait_dscnt 0x0
	v_add_f64_e32 v[4:5], v[4:5], v[10:11]
.LBB12_16:
	s_or_b32 exec_lo, exec_lo, s7
.LBB12_17:
	s_delay_alu instid0(SALU_CYCLE_1)
	s_or_b32 exec_lo, exec_lo, s6
	v_cmp_lt_u32_e64 s6, 7, v0
	v_subrev_nc_u32_e32 v19, 32, v14
	s_barrier_signal -1
	s_barrier_wait -1
	ds_store_b64 v1, v[4:5]
	s_wait_dscnt 0x0
	s_barrier_signal -1
	s_barrier_wait -1
	s_and_saveexec_b32 s7, s6
	s_cbranch_execz .LBB12_21
; %bb.18:
	ds_load_b32 v10, v19
	s_mov_b32 s8, exec_lo
	s_wait_dscnt 0x0
	v_cmpx_eq_u32_e64 v16, v10
	s_cbranch_execz .LBB12_20
; %bb.19:
	v_subrev_nc_u32_e32 v10, 64, v1
	ds_load_b64 v[10:11], v10
	s_wait_dscnt 0x0
	v_add_f64_e32 v[4:5], v[4:5], v[10:11]
.LBB12_20:
	s_or_b32 exec_lo, exec_lo, s8
.LBB12_21:
	s_delay_alu instid0(SALU_CYCLE_1)
	s_or_b32 exec_lo, exec_lo, s7
	v_cmp_lt_u32_e64 s7, 15, v0
	v_subrev_nc_u32_e32 v20, 64, v14
	s_barrier_signal -1
	s_barrier_wait -1
	ds_store_b64 v1, v[4:5]
	s_wait_dscnt 0x0
	s_barrier_signal -1
	s_barrier_wait -1
	s_and_saveexec_b32 s8, s7
	s_cbranch_execz .LBB12_25
; %bb.22:
	ds_load_b32 v10, v20
	s_mov_b32 s9, exec_lo
	s_wait_dscnt 0x0
	v_cmpx_eq_u32_e64 v16, v10
	s_cbranch_execz .LBB12_24
; %bb.23:
	v_add_nc_u32_e32 v10, 0xffffff80, v1
	ds_load_b64 v[10:11], v10
	s_wait_dscnt 0x0
	v_add_f64_e32 v[4:5], v[4:5], v[10:11]
.LBB12_24:
	s_or_b32 exec_lo, exec_lo, s9
.LBB12_25:
	s_delay_alu instid0(SALU_CYCLE_1)
	s_or_b32 exec_lo, exec_lo, s8
	v_cmp_lt_u32_e64 s8, 31, v0
	v_add_nc_u32_e32 v21, 0xffffff80, v14
	s_barrier_signal -1
	s_barrier_wait -1
	ds_store_b64 v1, v[4:5]
	s_wait_dscnt 0x0
	s_barrier_signal -1
	s_barrier_wait -1
	s_and_saveexec_b32 s9, s8
	s_cbranch_execz .LBB12_29
; %bb.26:
	ds_load_b32 v10, v21
	s_mov_b32 s10, exec_lo
	s_wait_dscnt 0x0
	v_cmpx_eq_u32_e64 v16, v10
	s_cbranch_execz .LBB12_28
; %bb.27:
	v_add_nc_u32_e32 v10, 0xffffff00, v1
	ds_load_b64 v[10:11], v10
	s_wait_dscnt 0x0
	v_add_f64_e32 v[4:5], v[4:5], v[10:11]
.LBB12_28:
	s_or_b32 exec_lo, exec_lo, s10
.LBB12_29:
	s_delay_alu instid0(SALU_CYCLE_1)
	s_or_b32 exec_lo, exec_lo, s9
	v_cmp_lt_u32_e64 s9, 63, v0
	v_add_nc_u32_e32 v22, 0xffffff00, v14
	s_barrier_signal -1
	s_barrier_wait -1
	ds_store_b64 v1, v[4:5]
	s_wait_dscnt 0x0
	s_barrier_signal -1
	s_barrier_wait -1
	s_and_saveexec_b32 s10, s9
	s_cbranch_execz .LBB12_33
; %bb.30:
	ds_load_b32 v10, v22
	s_mov_b32 s11, exec_lo
	s_wait_dscnt 0x0
	v_cmpx_eq_u32_e64 v16, v10
	s_cbranch_execz .LBB12_32
; %bb.31:
	v_add_nc_u32_e32 v10, 0xfffffe00, v1
	ds_load_b64 v[10:11], v10
	s_wait_dscnt 0x0
	v_add_f64_e32 v[4:5], v[4:5], v[10:11]
.LBB12_32:
	s_or_b32 exec_lo, exec_lo, s11
.LBB12_33:
	s_delay_alu instid0(SALU_CYCLE_1)
	s_or_b32 exec_lo, exec_lo, s10
	s_load_b64 s[20:21], s[0:1], 0x38
	v_cmp_lt_u32_e64 s10, 0x7f, v0
	v_add_nc_u32_e32 v23, 0xfffffe00, v14
	s_barrier_signal -1
	s_barrier_wait -1
	ds_store_b64 v1, v[4:5]
	s_wait_dscnt 0x0
	s_barrier_signal -1
	s_barrier_wait -1
	s_and_saveexec_b32 s11, s10
	s_cbranch_execz .LBB12_37
; %bb.34:
	ds_load_b32 v10, v23
	s_mov_b32 s12, exec_lo
	s_wait_dscnt 0x0
	v_cmpx_eq_u32_e64 v16, v10
	s_cbranch_execz .LBB12_36
; %bb.35:
	v_add_nc_u32_e32 v10, 0xfffffc00, v1
	ds_load_b64 v[10:11], v10
	s_wait_dscnt 0x0
	v_add_f64_e32 v[4:5], v[4:5], v[10:11]
.LBB12_36:
	s_or_b32 exec_lo, exec_lo, s12
.LBB12_37:
	s_delay_alu instid0(SALU_CYCLE_1)
	s_or_b32 exec_lo, exec_lo, s11
	v_cmp_gt_u32_e64 s11, 0xff, v0
	s_barrier_signal -1
	s_barrier_wait -1
	ds_store_b64 v1, v[4:5]
	s_wait_dscnt 0x0
	s_barrier_signal -1
	s_barrier_wait -1
	s_and_saveexec_b32 s13, s11
	s_cbranch_execz .LBB12_40
; %bb.38:
	ds_load_b32 v10, v14 offset:4
	v_cmp_lt_i32_e64 s12, -1, v16
	s_wait_dscnt 0x0
	v_cmp_ne_u32_e32 vcc_lo, v16, v10
	s_and_b32 s12, s12, vcc_lo
	s_delay_alu instid0(SALU_CYCLE_1)
	s_and_b32 exec_lo, exec_lo, s12
	s_cbranch_execz .LBB12_40
; %bb.39:
	s_wait_kmcnt 0x0
	global_load_b64 v[10:11], v16, s[20:21] scale_offset
	s_wait_loadcnt 0x0
	v_fmac_f64_e32 v[10:11], v[2:3], v[4:5]
	global_store_b64 v16, v[10:11], s[20:21] scale_offset
.LBB12_40:
	s_wait_xcnt 0x0
	s_or_b32 exec_lo, exec_lo, s13
	s_load_b128 s[12:15], s[0:1], 0x40
	s_cmp_lt_i32 s26, 2
	s_cbranch_scc1 .LBB12_87
; %bb.41:
	v_lshl_add_u64 v[4:5], v[6:7], 2, 0x400
	v_add_nc_u64_e32 v[8:9], 0x800, v[8:9]
	v_add_nc_u64_e32 v[6:7], 0x100, v[6:7]
	s_ashr_i32 s29, s28, 31
	v_dual_add_nc_u32 v24, -8, v1 :: v_dual_add_nc_u32 v25, -16, v1
	v_add_nc_u64_e32 v[10:11], s[18:19], v[4:5]
	v_add_nc_u64_e32 v[12:13], s[16:17], v[4:5]
	v_subrev_nc_u32_e32 v26, 32, v1
	v_subrev_nc_u32_e32 v27, 64, v1
	v_add_nc_u32_e32 v28, 0xffffff80, v1
	v_dual_mov_b32 v32, 0 :: v_dual_add_nc_u32 v29, 0xffffff00, v1
	v_add_nc_u32_e32 v30, 0xfffffe00, v1
	v_add_nc_u32_e32 v31, 0xfffffc00, v1
	s_wait_xcnt 0x0
	s_lshl_b64 s[0:1], s[28:29], 3
	s_delay_alu instid0(SALU_CYCLE_1)
	s_sub_nc_u64 s[16:17], s[22:23], s[0:1]
	s_add_co_i32 s1, s26, -1
	s_branch .LBB12_43
.LBB12_42:                              ;   in Loop: Header=BB12_43 Depth=1
	s_wait_xcnt 0x0
	s_or_b32 exec_lo, exec_lo, s18
	v_add_nc_u64_e32 v[10:11], 0x400, v[10:11]
	v_add_nc_u64_e32 v[8:9], 0x800, v[8:9]
	;; [unrolled: 1-line block ×4, first 2 shown]
	s_add_co_i32 s1, s1, -1
	s_delay_alu instid0(SALU_CYCLE_1)
	s_cmp_eq_u32 s1, 0
	s_cbranch_scc1 .LBB12_87
.LBB12_43:                              ; =>This Inner Loop Header: Depth=1
	v_mov_b64_e32 v[4:5], 0
	v_mov_b32_e32 v16, -1
	s_mov_b32 s0, exec_lo
	v_cmpx_gt_i64_e64 s[24:25], v[6:7]
	s_cbranch_execz .LBB12_45
; %bb.44:                               ;   in Loop: Header=BB12_43 Depth=1
	global_load_b32 v16, v[10:11], off th:TH_LOAD_NT
	global_load_b64 v[4:5], v[8:9], off th:TH_LOAD_NT
	s_wait_loadcnt 0x1
	global_load_b64 v[34:35], v16, s[16:17] scale_offset
	global_load_b32 v33, v[12:13], off th:TH_LOAD_NT
	s_wait_loadcnt 0x1
	v_mul_f64_e32 v[4:5], v[4:5], v[34:35]
	s_wait_loadcnt 0x0
	s_wait_xcnt 0x1
	v_subrev_nc_u32_e32 v16, s28, v33
.LBB12_45:                              ;   in Loop: Header=BB12_43 Depth=1
	s_wait_xcnt 0x0
	s_or_b32 exec_lo, exec_lo, s0
	s_and_saveexec_b32 s0, s2
	s_cbranch_execz .LBB12_52
; %bb.46:                               ;   in Loop: Header=BB12_43 Depth=1
	ds_load_b32 v33, v32 offset:3068
	s_mov_b32 s18, exec_lo
	s_wait_dscnt 0x0
	v_cmpx_ne_u32_e64 v16, v33
	s_xor_b32 s18, exec_lo, s18
	s_cbranch_execz .LBB12_49
; %bb.47:                               ;   in Loop: Header=BB12_43 Depth=1
	v_cmp_gt_i32_e32 vcc_lo, 0, v33
	s_cbranch_vccnz .LBB12_49
; %bb.48:                               ;   in Loop: Header=BB12_43 Depth=1
	s_wait_kmcnt 0x0
	global_load_b64 v[34:35], v33, s[20:21] scale_offset
	ds_load_b64 v[36:37], v32 offset:2040
	s_wait_loadcnt_dscnt 0x0
	v_fmac_f64_e32 v[34:35], v[2:3], v[36:37]
	global_store_b64 v33, v[34:35], s[20:21] scale_offset
.LBB12_49:                              ;   in Loop: Header=BB12_43 Depth=1
	s_wait_xcnt 0x0
	s_and_not1_saveexec_b32 s18, s18
	s_cbranch_execz .LBB12_51
; %bb.50:                               ;   in Loop: Header=BB12_43 Depth=1
	ds_load_b64 v[34:35], v32 offset:2040
	s_wait_dscnt 0x0
	v_add_f64_e32 v[4:5], v[4:5], v[34:35]
.LBB12_51:                              ;   in Loop: Header=BB12_43 Depth=1
	s_or_b32 exec_lo, exec_lo, s18
.LBB12_52:                              ;   in Loop: Header=BB12_43 Depth=1
	s_delay_alu instid0(SALU_CYCLE_1)
	s_or_b32 exec_lo, exec_lo, s0
	s_wait_storecnt 0x0
	s_barrier_signal -1
	s_barrier_wait -1
	ds_store_b32 v14, v16
	ds_store_b64 v1, v[4:5]
	s_wait_dscnt 0x0
	s_barrier_signal -1
	s_barrier_wait -1
	s_and_saveexec_b32 s0, s3
	s_cbranch_execz .LBB12_56
; %bb.53:                               ;   in Loop: Header=BB12_43 Depth=1
	ds_load_b32 v33, v15
	s_mov_b32 s18, exec_lo
	s_wait_dscnt 0x0
	v_cmpx_eq_u32_e64 v16, v33
	s_cbranch_execz .LBB12_55
; %bb.54:                               ;   in Loop: Header=BB12_43 Depth=1
	ds_load_b64 v[34:35], v24
	s_wait_dscnt 0x0
	v_add_f64_e32 v[4:5], v[4:5], v[34:35]
.LBB12_55:                              ;   in Loop: Header=BB12_43 Depth=1
	s_or_b32 exec_lo, exec_lo, s18
.LBB12_56:                              ;   in Loop: Header=BB12_43 Depth=1
	s_delay_alu instid0(SALU_CYCLE_1)
	s_or_b32 exec_lo, exec_lo, s0
	s_barrier_signal -1
	s_barrier_wait -1
	ds_store_b64 v1, v[4:5]
	s_wait_dscnt 0x0
	s_barrier_signal -1
	s_barrier_wait -1
	s_and_saveexec_b32 s0, s4
	s_cbranch_execz .LBB12_60
; %bb.57:                               ;   in Loop: Header=BB12_43 Depth=1
	ds_load_b32 v33, v17
	s_mov_b32 s18, exec_lo
	s_wait_dscnt 0x0
	v_cmpx_eq_u32_e64 v16, v33
	s_cbranch_execz .LBB12_59
; %bb.58:                               ;   in Loop: Header=BB12_43 Depth=1
	ds_load_b64 v[34:35], v25
	s_wait_dscnt 0x0
	v_add_f64_e32 v[4:5], v[4:5], v[34:35]
.LBB12_59:                              ;   in Loop: Header=BB12_43 Depth=1
	s_or_b32 exec_lo, exec_lo, s18
.LBB12_60:                              ;   in Loop: Header=BB12_43 Depth=1
	s_delay_alu instid0(SALU_CYCLE_1)
	s_or_b32 exec_lo, exec_lo, s0
	s_barrier_signal -1
	s_barrier_wait -1
	;; [unrolled: 23-line block ×8, first 2 shown]
	ds_store_b64 v1, v[4:5]
	s_wait_dscnt 0x0
	s_barrier_signal -1
	s_barrier_wait -1
	s_and_saveexec_b32 s18, s11
	s_cbranch_execz .LBB12_42
; %bb.85:                               ;   in Loop: Header=BB12_43 Depth=1
	ds_load_b32 v33, v14 offset:4
	v_cmp_lt_i32_e64 s0, -1, v16
	s_wait_dscnt 0x0
	v_cmp_ne_u32_e32 vcc_lo, v16, v33
	s_and_b32 s0, s0, vcc_lo
	s_delay_alu instid0(SALU_CYCLE_1)
	s_and_b32 exec_lo, exec_lo, s0
	s_cbranch_execz .LBB12_42
; %bb.86:                               ;   in Loop: Header=BB12_43 Depth=1
	s_wait_kmcnt 0x0
	global_load_b64 v[34:35], v16, s[20:21] scale_offset
	s_wait_loadcnt 0x0
	v_fmac_f64_e32 v[34:35], v[2:3], v[4:5]
	global_store_b64 v16, v[34:35], s[20:21] scale_offset
	s_branch .LBB12_42
.LBB12_87:
	v_cmp_eq_u32_e32 vcc_lo, 0xff, v0
	s_and_b32 exec_lo, exec_lo, vcc_lo
	s_cbranch_execz .LBB12_89
; %bb.88:
	v_dual_mul_f64 v[0:1], v[2:3], v[4:5] :: v_dual_mov_b32 v2, s27
	s_wait_kmcnt 0x0
	s_clause 0x1
	global_store_b32 v2, v16, s[12:13] scale_offset th:TH_STORE_NT
	global_store_b64 v2, v[0:1], s[14:15] scale_offset th:TH_STORE_NT
.LBB12_89:
	s_endpgm
	.section	.rodata,"a",@progbits
	.p2align	6, 0x0
	.amdhsa_kernel _ZN9rocsparseL22coomvn_segmented_loopsILj256EiddddEEvlT0_NS_24const_host_device_scalarIT4_EEPKS1_S6_PKT1_PKT2_PT3_PS1_PS3_21rocsparse_index_base_b
		.amdhsa_group_segment_fixed_size 3072
		.amdhsa_private_segment_fixed_size 0
		.amdhsa_kernarg_size 88
		.amdhsa_user_sgpr_count 2
		.amdhsa_user_sgpr_dispatch_ptr 0
		.amdhsa_user_sgpr_queue_ptr 0
		.amdhsa_user_sgpr_kernarg_segment_ptr 1
		.amdhsa_user_sgpr_dispatch_id 0
		.amdhsa_user_sgpr_kernarg_preload_length 0
		.amdhsa_user_sgpr_kernarg_preload_offset 0
		.amdhsa_user_sgpr_private_segment_size 0
		.amdhsa_wavefront_size32 1
		.amdhsa_uses_dynamic_stack 0
		.amdhsa_enable_private_segment 0
		.amdhsa_system_sgpr_workgroup_id_x 1
		.amdhsa_system_sgpr_workgroup_id_y 0
		.amdhsa_system_sgpr_workgroup_id_z 0
		.amdhsa_system_sgpr_workgroup_info 0
		.amdhsa_system_vgpr_workitem_id 0
		.amdhsa_next_free_vgpr 38
		.amdhsa_next_free_sgpr 30
		.amdhsa_named_barrier_count 0
		.amdhsa_reserve_vcc 1
		.amdhsa_float_round_mode_32 0
		.amdhsa_float_round_mode_16_64 0
		.amdhsa_float_denorm_mode_32 3
		.amdhsa_float_denorm_mode_16_64 3
		.amdhsa_fp16_overflow 0
		.amdhsa_memory_ordered 1
		.amdhsa_forward_progress 1
		.amdhsa_inst_pref_size 22
		.amdhsa_round_robin_scheduling 0
		.amdhsa_exception_fp_ieee_invalid_op 0
		.amdhsa_exception_fp_denorm_src 0
		.amdhsa_exception_fp_ieee_div_zero 0
		.amdhsa_exception_fp_ieee_overflow 0
		.amdhsa_exception_fp_ieee_underflow 0
		.amdhsa_exception_fp_ieee_inexact 0
		.amdhsa_exception_int_div_zero 0
	.end_amdhsa_kernel
	.section	.text._ZN9rocsparseL22coomvn_segmented_loopsILj256EiddddEEvlT0_NS_24const_host_device_scalarIT4_EEPKS1_S6_PKT1_PKT2_PT3_PS1_PS3_21rocsparse_index_base_b,"axG",@progbits,_ZN9rocsparseL22coomvn_segmented_loopsILj256EiddddEEvlT0_NS_24const_host_device_scalarIT4_EEPKS1_S6_PKT1_PKT2_PT3_PS1_PS3_21rocsparse_index_base_b,comdat
.Lfunc_end12:
	.size	_ZN9rocsparseL22coomvn_segmented_loopsILj256EiddddEEvlT0_NS_24const_host_device_scalarIT4_EEPKS1_S6_PKT1_PKT2_PT3_PS1_PS3_21rocsparse_index_base_b, .Lfunc_end12-_ZN9rocsparseL22coomvn_segmented_loopsILj256EiddddEEvlT0_NS_24const_host_device_scalarIT4_EEPKS1_S6_PKT1_PKT2_PT3_PS1_PS3_21rocsparse_index_base_b
                                        ; -- End function
	.set _ZN9rocsparseL22coomvn_segmented_loopsILj256EiddddEEvlT0_NS_24const_host_device_scalarIT4_EEPKS1_S6_PKT1_PKT2_PT3_PS1_PS3_21rocsparse_index_base_b.num_vgpr, 38
	.set _ZN9rocsparseL22coomvn_segmented_loopsILj256EiddddEEvlT0_NS_24const_host_device_scalarIT4_EEPKS1_S6_PKT1_PKT2_PT3_PS1_PS3_21rocsparse_index_base_b.num_agpr, 0
	.set _ZN9rocsparseL22coomvn_segmented_loopsILj256EiddddEEvlT0_NS_24const_host_device_scalarIT4_EEPKS1_S6_PKT1_PKT2_PT3_PS1_PS3_21rocsparse_index_base_b.numbered_sgpr, 30
	.set _ZN9rocsparseL22coomvn_segmented_loopsILj256EiddddEEvlT0_NS_24const_host_device_scalarIT4_EEPKS1_S6_PKT1_PKT2_PT3_PS1_PS3_21rocsparse_index_base_b.num_named_barrier, 0
	.set _ZN9rocsparseL22coomvn_segmented_loopsILj256EiddddEEvlT0_NS_24const_host_device_scalarIT4_EEPKS1_S6_PKT1_PKT2_PT3_PS1_PS3_21rocsparse_index_base_b.private_seg_size, 0
	.set _ZN9rocsparseL22coomvn_segmented_loopsILj256EiddddEEvlT0_NS_24const_host_device_scalarIT4_EEPKS1_S6_PKT1_PKT2_PT3_PS1_PS3_21rocsparse_index_base_b.uses_vcc, 1
	.set _ZN9rocsparseL22coomvn_segmented_loopsILj256EiddddEEvlT0_NS_24const_host_device_scalarIT4_EEPKS1_S6_PKT1_PKT2_PT3_PS1_PS3_21rocsparse_index_base_b.uses_flat_scratch, 0
	.set _ZN9rocsparseL22coomvn_segmented_loopsILj256EiddddEEvlT0_NS_24const_host_device_scalarIT4_EEPKS1_S6_PKT1_PKT2_PT3_PS1_PS3_21rocsparse_index_base_b.has_dyn_sized_stack, 0
	.set _ZN9rocsparseL22coomvn_segmented_loopsILj256EiddddEEvlT0_NS_24const_host_device_scalarIT4_EEPKS1_S6_PKT1_PKT2_PT3_PS1_PS3_21rocsparse_index_base_b.has_recursion, 0
	.set _ZN9rocsparseL22coomvn_segmented_loopsILj256EiddddEEvlT0_NS_24const_host_device_scalarIT4_EEPKS1_S6_PKT1_PKT2_PT3_PS1_PS3_21rocsparse_index_base_b.has_indirect_call, 0
	.section	.AMDGPU.csdata,"",@progbits
; Kernel info:
; codeLenInByte = 2744
; TotalNumSgprs: 32
; NumVgprs: 38
; ScratchSize: 0
; MemoryBound: 1
; FloatMode: 240
; IeeeMode: 1
; LDSByteSize: 3072 bytes/workgroup (compile time only)
; SGPRBlocks: 0
; VGPRBlocks: 2
; NumSGPRsForWavesPerEU: 32
; NumVGPRsForWavesPerEU: 38
; NamedBarCnt: 0
; Occupancy: 16
; WaveLimiterHint : 1
; COMPUTE_PGM_RSRC2:SCRATCH_EN: 0
; COMPUTE_PGM_RSRC2:USER_SGPR: 2
; COMPUTE_PGM_RSRC2:TRAP_HANDLER: 0
; COMPUTE_PGM_RSRC2:TGID_X_EN: 1
; COMPUTE_PGM_RSRC2:TGID_Y_EN: 0
; COMPUTE_PGM_RSRC2:TGID_Z_EN: 0
; COMPUTE_PGM_RSRC2:TIDIG_COMP_CNT: 0
	.section	.text._ZN9rocsparseL29coomvn_segmented_loops_reduceILj256EiddEEvT0_NS_24const_host_device_scalarIT2_EEPKS1_PKS3_PT1_b,"axG",@progbits,_ZN9rocsparseL29coomvn_segmented_loops_reduceILj256EiddEEvT0_NS_24const_host_device_scalarIT2_EEPKS1_PKS3_PT1_b,comdat
	.globl	_ZN9rocsparseL29coomvn_segmented_loops_reduceILj256EiddEEvT0_NS_24const_host_device_scalarIT2_EEPKS1_PKS3_PT1_b ; -- Begin function _ZN9rocsparseL29coomvn_segmented_loops_reduceILj256EiddEEvT0_NS_24const_host_device_scalarIT2_EEPKS1_PKS3_PT1_b
	.p2align	8
	.type	_ZN9rocsparseL29coomvn_segmented_loops_reduceILj256EiddEEvT0_NS_24const_host_device_scalarIT2_EEPKS1_PKS3_PT1_b,@function
_ZN9rocsparseL29coomvn_segmented_loops_reduceILj256EiddEEvT0_NS_24const_host_device_scalarIT2_EEPKS1_PKS3_PT1_b: ; @_ZN9rocsparseL29coomvn_segmented_loops_reduceILj256EiddEEvT0_NS_24const_host_device_scalarIT2_EEPKS1_PKS3_PT1_b
; %bb.0:
	s_clause 0x1
	s_load_b32 s4, s[0:1], 0x28
	s_load_b64 s[2:3], s[0:1], 0x8
	s_wait_kmcnt 0x0
	s_bitcmp1_b32 s4, 0
	v_mov_b64_e32 v[2:3], s[2:3]
	s_cselect_b32 s4, -1, 0
	s_delay_alu instid0(SALU_CYCLE_1)
	s_and_b32 vcc_lo, exec_lo, s4
	s_cbranch_vccnz .LBB13_2
; %bb.1:
	v_mov_b32_e32 v1, 0
	flat_load_b64 v[2:3], v1, s[2:3]
.LBB13_2:
	s_wait_xcnt 0x0
	s_mov_b32 s2, exec_lo
	s_wait_loadcnt_dscnt 0x0
	v_cmpx_neq_f64_e32 0, v[2:3]
	s_cbranch_execz .LBB13_44
; %bb.3:
	s_load_b32 s8, s[0:1], 0x0
	s_wait_kmcnt 0x0
	s_cmp_lt_i32 s8, 1
	s_cbranch_scc1 .LBB13_44
; %bb.4:
	v_sub_co_u32 v2, s9, v0, 1
	s_clause 0x1
	s_load_b128 s[4:7], s[0:1], 0x10
	s_load_b64 s[2:3], s[0:1], 0x20
	s_wait_xcnt 0x0
	v_sub_co_u32 v3, s1, v0, 4
	v_lshl_add_u32 v7, v2, 2, 0x800
	v_sub_co_u32 v2, s0, v0, 2
	s_xor_b32 s10, s0, -1
	s_xor_b32 s11, s1, -1
	v_lshl_add_u32 v11, v3, 2, 0x800
	v_lshl_add_u32 v9, v2, 2, 0x800
	v_sub_co_u32 v2, s0, v0, 8
	v_sub_co_u32 v3, s1, v0, 16
	s_xor_b32 s12, s0, -1
	v_lshl_add_u32 v13, v2, 2, 0x800
	v_sub_co_u32 v2, s0, v0, 32
	v_lshlrev_b32_e32 v6, 3, v0
	s_xor_b32 s13, s1, -1
	v_lshl_add_u32 v15, v3, 2, 0x800
	s_xor_b32 s14, s0, -1
	v_sub_co_u32 v3, s0, v0, 64
	v_subrev_co_u32 v4, s1, 0x80, v0
	v_lshl_or_b32 v1, v0, 2, 0x800
	v_dual_add_nc_u32 v8, -8, v6 :: v_dual_add_nc_u32 v10, -16, v6
	v_subrev_nc_u32_e32 v12, 32, v6
	v_subrev_nc_u32_e32 v14, 64, v6
	v_add_nc_u32_e32 v16, 0xffffff80, v6
	v_lshl_add_u32 v17, v2, 2, 0x800
	v_add_nc_u32_e32 v18, 0xffffff00, v6
	v_lshl_add_u32 v19, v3, 2, 0x800
	;; [unrolled: 2-line block ×3, first 2 shown]
	v_add_nc_u32_e32 v22, 0xfffffc00, v6
	s_xor_b32 s9, s9, -1
	s_xor_b32 s15, s0, -1
	;; [unrolled: 1-line block ×3, first 2 shown]
	s_mov_b32 s17, 0
	v_cmp_gt_u32_e32 vcc_lo, 0xff, v0
	s_branch .LBB13_6
.LBB13_5:                               ;   in Loop: Header=BB13_6 Depth=1
	s_wait_xcnt 0x0
	s_or_b32 exec_lo, exec_lo, s0
	s_addk_co_i32 s17, 0x100
	s_wait_storecnt 0x0
	s_cmp_lt_i32 s17, s8
	s_barrier_signal -1
	s_barrier_wait -1
	s_cbranch_scc0 .LBB13_44
.LBB13_6:                               ; =>This Inner Loop Header: Depth=1
	v_mov_b64_e32 v[2:3], 0
	v_mov_b64_e32 v[4:5], 0
	v_dual_mov_b32 v24, -1 :: v_dual_add_nc_u32 v23, s17, v0
	s_mov_b32 s1, exec_lo
	s_delay_alu instid0(VALU_DEP_1)
	v_cmpx_gt_i32_e64 s8, v23
	s_cbranch_execz .LBB13_8
; %bb.7:                                ;   in Loop: Header=BB13_6 Depth=1
	s_wait_kmcnt 0x0
	s_clause 0x1
	global_load_b32 v24, v23, s[4:5] scale_offset
	global_load_b64 v[4:5], v23, s[6:7] scale_offset
.LBB13_8:                               ;   in Loop: Header=BB13_6 Depth=1
	s_wait_xcnt 0x0
	s_or_b32 exec_lo, exec_lo, s1
	s_wait_loadcnt 0x1
	ds_store_b32 v1, v24
	s_wait_loadcnt 0x0
	ds_store_b64 v6, v[4:5]
	s_wait_dscnt 0x0
	s_barrier_signal -1
	s_barrier_wait -1
	s_and_saveexec_b32 s1, s9
	s_cbranch_execz .LBB13_12
; %bb.9:                                ;   in Loop: Header=BB13_6 Depth=1
	ds_load_2addr_b32 v[4:5], v7 offset1:1
	v_mov_b64_e32 v[2:3], 0
	s_mov_b32 s18, exec_lo
	s_wait_dscnt 0x0
	v_cmpx_eq_u32_e64 v5, v4
; %bb.10:                               ;   in Loop: Header=BB13_6 Depth=1
	ds_load_b64 v[2:3], v8
; %bb.11:                               ;   in Loop: Header=BB13_6 Depth=1
	s_or_b32 exec_lo, exec_lo, s18
.LBB13_12:                              ;   in Loop: Header=BB13_6 Depth=1
	s_delay_alu instid0(SALU_CYCLE_1)
	s_or_b32 exec_lo, exec_lo, s1
	s_wait_dscnt 0x0
	s_barrier_signal -1
	s_barrier_wait -1
	ds_load_b64 v[4:5], v6
	s_wait_dscnt 0x0
	v_add_f64_e32 v[24:25], v[2:3], v[4:5]
	v_mov_b64_e32 v[2:3], 0
	v_mov_b64_e32 v[4:5], 0
	ds_store_b64 v6, v[24:25]
	s_wait_dscnt 0x0
	s_barrier_signal -1
	s_barrier_wait -1
	s_and_saveexec_b32 s1, s10
	s_cbranch_execz .LBB13_16
; %bb.13:                               ;   in Loop: Header=BB13_6 Depth=1
	ds_load_b32 v23, v1
	ds_load_b32 v24, v9
	v_mov_b64_e32 v[4:5], 0
	s_mov_b32 s18, exec_lo
	s_wait_dscnt 0x0
	v_cmpx_eq_u32_e64 v23, v24
; %bb.14:                               ;   in Loop: Header=BB13_6 Depth=1
	ds_load_b64 v[4:5], v10
; %bb.15:                               ;   in Loop: Header=BB13_6 Depth=1
	s_or_b32 exec_lo, exec_lo, s18
.LBB13_16:                              ;   in Loop: Header=BB13_6 Depth=1
	s_delay_alu instid0(SALU_CYCLE_1)
	s_or_b32 exec_lo, exec_lo, s1
	s_wait_dscnt 0x0
	s_barrier_signal -1
	s_barrier_wait -1
	ds_load_b64 v[24:25], v6
	s_wait_dscnt 0x0
	v_add_f64_e32 v[4:5], v[4:5], v[24:25]
	ds_store_b64 v6, v[4:5]
	s_wait_dscnt 0x0
	s_barrier_signal -1
	s_barrier_wait -1
	s_and_saveexec_b32 s1, s11
	s_cbranch_execz .LBB13_20
; %bb.17:                               ;   in Loop: Header=BB13_6 Depth=1
	ds_load_b32 v4, v1
	ds_load_b32 v5, v11
	v_mov_b64_e32 v[2:3], 0
	s_mov_b32 s18, exec_lo
	s_wait_dscnt 0x0
	v_cmpx_eq_u32_e64 v4, v5
; %bb.18:                               ;   in Loop: Header=BB13_6 Depth=1
	ds_load_b64 v[2:3], v12
; %bb.19:                               ;   in Loop: Header=BB13_6 Depth=1
	s_or_b32 exec_lo, exec_lo, s18
.LBB13_20:                              ;   in Loop: Header=BB13_6 Depth=1
	s_delay_alu instid0(SALU_CYCLE_1)
	s_or_b32 exec_lo, exec_lo, s1
	s_wait_dscnt 0x0
	s_barrier_signal -1
	s_barrier_wait -1
	ds_load_b64 v[4:5], v6
	s_wait_dscnt 0x0
	v_add_f64_e32 v[24:25], v[2:3], v[4:5]
	v_mov_b64_e32 v[2:3], 0
	v_mov_b64_e32 v[4:5], 0
	ds_store_b64 v6, v[24:25]
	s_wait_dscnt 0x0
	s_barrier_signal -1
	s_barrier_wait -1
	s_and_saveexec_b32 s1, s12
	s_cbranch_execz .LBB13_24
; %bb.21:                               ;   in Loop: Header=BB13_6 Depth=1
	ds_load_b32 v23, v1
	ds_load_b32 v24, v13
	v_mov_b64_e32 v[4:5], 0
	s_mov_b32 s18, exec_lo
	s_wait_dscnt 0x0
	v_cmpx_eq_u32_e64 v23, v24
; %bb.22:                               ;   in Loop: Header=BB13_6 Depth=1
	ds_load_b64 v[4:5], v14
; %bb.23:                               ;   in Loop: Header=BB13_6 Depth=1
	s_or_b32 exec_lo, exec_lo, s18
.LBB13_24:                              ;   in Loop: Header=BB13_6 Depth=1
	s_delay_alu instid0(SALU_CYCLE_1)
	s_or_b32 exec_lo, exec_lo, s1
	s_wait_dscnt 0x0
	s_barrier_signal -1
	s_barrier_wait -1
	ds_load_b64 v[24:25], v6
	s_wait_dscnt 0x0
	v_add_f64_e32 v[4:5], v[4:5], v[24:25]
	ds_store_b64 v6, v[4:5]
	s_wait_dscnt 0x0
	s_barrier_signal -1
	s_barrier_wait -1
	s_and_saveexec_b32 s1, s13
	s_cbranch_execz .LBB13_28
; %bb.25:                               ;   in Loop: Header=BB13_6 Depth=1
	ds_load_b32 v4, v1
	ds_load_b32 v5, v15
	v_mov_b64_e32 v[2:3], 0
	s_mov_b32 s18, exec_lo
	s_wait_dscnt 0x0
	v_cmpx_eq_u32_e64 v4, v5
; %bb.26:                               ;   in Loop: Header=BB13_6 Depth=1
	ds_load_b64 v[2:3], v16
; %bb.27:                               ;   in Loop: Header=BB13_6 Depth=1
	s_or_b32 exec_lo, exec_lo, s18
.LBB13_28:                              ;   in Loop: Header=BB13_6 Depth=1
	;; [unrolled: 54-line block ×3, first 2 shown]
	s_delay_alu instid0(SALU_CYCLE_1)
	s_or_b32 exec_lo, exec_lo, s1
	s_wait_dscnt 0x0
	s_barrier_signal -1
	s_barrier_wait -1
	ds_load_b64 v[4:5], v6
	s_wait_dscnt 0x0
	v_add_f64_e32 v[4:5], v[2:3], v[4:5]
	v_mov_b64_e32 v[2:3], 0
	ds_store_b64 v6, v[4:5]
	s_wait_dscnt 0x0
	s_barrier_signal -1
	s_barrier_wait -1
	s_and_saveexec_b32 s1, s16
	s_cbranch_execz .LBB13_40
; %bb.37:                               ;   in Loop: Header=BB13_6 Depth=1
	ds_load_b32 v4, v1
	ds_load_b32 v5, v21
	v_mov_b64_e32 v[2:3], 0
	s_mov_b32 s18, exec_lo
	s_wait_dscnt 0x0
	v_cmpx_eq_u32_e64 v4, v5
; %bb.38:                               ;   in Loop: Header=BB13_6 Depth=1
	ds_load_b64 v[2:3], v22
; %bb.39:                               ;   in Loop: Header=BB13_6 Depth=1
	s_or_b32 exec_lo, exec_lo, s18
.LBB13_40:                              ;   in Loop: Header=BB13_6 Depth=1
	s_delay_alu instid0(SALU_CYCLE_1)
	s_or_b32 exec_lo, exec_lo, s1
	s_wait_dscnt 0x0
	s_barrier_signal -1
	s_barrier_wait -1
	ds_load_b64 v[4:5], v6
	s_wait_dscnt 0x0
	v_add_f64_e32 v[2:3], v[2:3], v[4:5]
	ds_store_b64 v6, v[2:3]
	s_wait_dscnt 0x0
	s_barrier_signal -1
	s_barrier_wait -1
	ds_load_b32 v2, v1
	v_mov_b32_e32 v3, -1
	s_and_saveexec_b32 s0, vcc_lo
; %bb.41:                               ;   in Loop: Header=BB13_6 Depth=1
	ds_load_b32 v3, v1 offset:4
; %bb.42:                               ;   in Loop: Header=BB13_6 Depth=1
	s_or_b32 exec_lo, exec_lo, s0
	s_wait_dscnt 0x0
	v_cmp_ne_u32_e64 s0, v2, v3
	v_cmp_lt_i32_e64 s1, -1, v2
	s_and_b32 s1, s1, s0
	s_delay_alu instid0(SALU_CYCLE_1)
	s_and_saveexec_b32 s0, s1
	s_cbranch_execz .LBB13_5
; %bb.43:                               ;   in Loop: Header=BB13_6 Depth=1
	s_wait_kmcnt 0x0
	global_load_b64 v[4:5], v2, s[2:3] scale_offset
	ds_load_b64 v[24:25], v6
	s_wait_loadcnt_dscnt 0x0
	v_add_f64_e32 v[4:5], v[4:5], v[24:25]
	global_store_b64 v2, v[4:5], s[2:3] scale_offset
	s_branch .LBB13_5
.LBB13_44:
	s_endpgm
	.section	.rodata,"a",@progbits
	.p2align	6, 0x0
	.amdhsa_kernel _ZN9rocsparseL29coomvn_segmented_loops_reduceILj256EiddEEvT0_NS_24const_host_device_scalarIT2_EEPKS1_PKS3_PT1_b
		.amdhsa_group_segment_fixed_size 3072
		.amdhsa_private_segment_fixed_size 0
		.amdhsa_kernarg_size 44
		.amdhsa_user_sgpr_count 2
		.amdhsa_user_sgpr_dispatch_ptr 0
		.amdhsa_user_sgpr_queue_ptr 0
		.amdhsa_user_sgpr_kernarg_segment_ptr 1
		.amdhsa_user_sgpr_dispatch_id 0
		.amdhsa_user_sgpr_kernarg_preload_length 0
		.amdhsa_user_sgpr_kernarg_preload_offset 0
		.amdhsa_user_sgpr_private_segment_size 0
		.amdhsa_wavefront_size32 1
		.amdhsa_uses_dynamic_stack 0
		.amdhsa_enable_private_segment 0
		.amdhsa_system_sgpr_workgroup_id_x 1
		.amdhsa_system_sgpr_workgroup_id_y 0
		.amdhsa_system_sgpr_workgroup_id_z 0
		.amdhsa_system_sgpr_workgroup_info 0
		.amdhsa_system_vgpr_workitem_id 0
		.amdhsa_next_free_vgpr 26
		.amdhsa_next_free_sgpr 19
		.amdhsa_named_barrier_count 0
		.amdhsa_reserve_vcc 1
		.amdhsa_float_round_mode_32 0
		.amdhsa_float_round_mode_16_64 0
		.amdhsa_float_denorm_mode_32 3
		.amdhsa_float_denorm_mode_16_64 3
		.amdhsa_fp16_overflow 0
		.amdhsa_memory_ordered 1
		.amdhsa_forward_progress 1
		.amdhsa_inst_pref_size 13
		.amdhsa_round_robin_scheduling 0
		.amdhsa_exception_fp_ieee_invalid_op 0
		.amdhsa_exception_fp_denorm_src 0
		.amdhsa_exception_fp_ieee_div_zero 0
		.amdhsa_exception_fp_ieee_overflow 0
		.amdhsa_exception_fp_ieee_underflow 0
		.amdhsa_exception_fp_ieee_inexact 0
		.amdhsa_exception_int_div_zero 0
	.end_amdhsa_kernel
	.section	.text._ZN9rocsparseL29coomvn_segmented_loops_reduceILj256EiddEEvT0_NS_24const_host_device_scalarIT2_EEPKS1_PKS3_PT1_b,"axG",@progbits,_ZN9rocsparseL29coomvn_segmented_loops_reduceILj256EiddEEvT0_NS_24const_host_device_scalarIT2_EEPKS1_PKS3_PT1_b,comdat
.Lfunc_end13:
	.size	_ZN9rocsparseL29coomvn_segmented_loops_reduceILj256EiddEEvT0_NS_24const_host_device_scalarIT2_EEPKS1_PKS3_PT1_b, .Lfunc_end13-_ZN9rocsparseL29coomvn_segmented_loops_reduceILj256EiddEEvT0_NS_24const_host_device_scalarIT2_EEPKS1_PKS3_PT1_b
                                        ; -- End function
	.set _ZN9rocsparseL29coomvn_segmented_loops_reduceILj256EiddEEvT0_NS_24const_host_device_scalarIT2_EEPKS1_PKS3_PT1_b.num_vgpr, 26
	.set _ZN9rocsparseL29coomvn_segmented_loops_reduceILj256EiddEEvT0_NS_24const_host_device_scalarIT2_EEPKS1_PKS3_PT1_b.num_agpr, 0
	.set _ZN9rocsparseL29coomvn_segmented_loops_reduceILj256EiddEEvT0_NS_24const_host_device_scalarIT2_EEPKS1_PKS3_PT1_b.numbered_sgpr, 19
	.set _ZN9rocsparseL29coomvn_segmented_loops_reduceILj256EiddEEvT0_NS_24const_host_device_scalarIT2_EEPKS1_PKS3_PT1_b.num_named_barrier, 0
	.set _ZN9rocsparseL29coomvn_segmented_loops_reduceILj256EiddEEvT0_NS_24const_host_device_scalarIT2_EEPKS1_PKS3_PT1_b.private_seg_size, 0
	.set _ZN9rocsparseL29coomvn_segmented_loops_reduceILj256EiddEEvT0_NS_24const_host_device_scalarIT2_EEPKS1_PKS3_PT1_b.uses_vcc, 1
	.set _ZN9rocsparseL29coomvn_segmented_loops_reduceILj256EiddEEvT0_NS_24const_host_device_scalarIT2_EEPKS1_PKS3_PT1_b.uses_flat_scratch, 0
	.set _ZN9rocsparseL29coomvn_segmented_loops_reduceILj256EiddEEvT0_NS_24const_host_device_scalarIT2_EEPKS1_PKS3_PT1_b.has_dyn_sized_stack, 0
	.set _ZN9rocsparseL29coomvn_segmented_loops_reduceILj256EiddEEvT0_NS_24const_host_device_scalarIT2_EEPKS1_PKS3_PT1_b.has_recursion, 0
	.set _ZN9rocsparseL29coomvn_segmented_loops_reduceILj256EiddEEvT0_NS_24const_host_device_scalarIT2_EEPKS1_PKS3_PT1_b.has_indirect_call, 0
	.section	.AMDGPU.csdata,"",@progbits
; Kernel info:
; codeLenInByte = 1584
; TotalNumSgprs: 21
; NumVgprs: 26
; ScratchSize: 0
; MemoryBound: 0
; FloatMode: 240
; IeeeMode: 1
; LDSByteSize: 3072 bytes/workgroup (compile time only)
; SGPRBlocks: 0
; VGPRBlocks: 1
; NumSGPRsForWavesPerEU: 21
; NumVGPRsForWavesPerEU: 26
; NamedBarCnt: 0
; Occupancy: 16
; WaveLimiterHint : 0
; COMPUTE_PGM_RSRC2:SCRATCH_EN: 0
; COMPUTE_PGM_RSRC2:USER_SGPR: 2
; COMPUTE_PGM_RSRC2:TRAP_HANDLER: 0
; COMPUTE_PGM_RSRC2:TGID_X_EN: 1
; COMPUTE_PGM_RSRC2:TGID_Y_EN: 0
; COMPUTE_PGM_RSRC2:TGID_Z_EN: 0
; COMPUTE_PGM_RSRC2:TIDIG_COMP_CNT: 0
	.section	.text._ZN9rocsparseL13coomvt_kernelILj1024EiddddEEv20rocsparse_operation_lNS_24const_host_device_scalarIT4_EEPKT0_S7_PKT1_PKT2_PT3_21rocsparse_index_base_b,"axG",@progbits,_ZN9rocsparseL13coomvt_kernelILj1024EiddddEEv20rocsparse_operation_lNS_24const_host_device_scalarIT4_EEPKT0_S7_PKT1_PKT2_PT3_21rocsparse_index_base_b,comdat
	.globl	_ZN9rocsparseL13coomvt_kernelILj1024EiddddEEv20rocsparse_operation_lNS_24const_host_device_scalarIT4_EEPKT0_S7_PKT1_PKT2_PT3_21rocsparse_index_base_b ; -- Begin function _ZN9rocsparseL13coomvt_kernelILj1024EiddddEEv20rocsparse_operation_lNS_24const_host_device_scalarIT4_EEPKT0_S7_PKT1_PKT2_PT3_21rocsparse_index_base_b
	.p2align	8
	.type	_ZN9rocsparseL13coomvt_kernelILj1024EiddddEEv20rocsparse_operation_lNS_24const_host_device_scalarIT4_EEPKT0_S7_PKT1_PKT2_PT3_21rocsparse_index_base_b,@function
_ZN9rocsparseL13coomvt_kernelILj1024EiddddEEv20rocsparse_operation_lNS_24const_host_device_scalarIT4_EEPKT0_S7_PKT1_PKT2_PT3_21rocsparse_index_base_b: ; @_ZN9rocsparseL13coomvt_kernelILj1024EiddddEEv20rocsparse_operation_lNS_24const_host_device_scalarIT4_EEPKT0_S7_PKT1_PKT2_PT3_21rocsparse_index_base_b
; %bb.0:
	s_clause 0x1
	s_load_b64 s[2:3], s[0:1], 0x40
	s_load_b128 s[4:7], s[0:1], 0x8
	s_wait_kmcnt 0x0
	s_bitcmp1_b32 s3, 0
	v_mov_b64_e32 v[2:3], s[6:7]
	s_cselect_b32 s3, -1, 0
	s_delay_alu instid0(SALU_CYCLE_1)
	s_and_b32 vcc_lo, exec_lo, s3
	s_cbranch_vccnz .LBB14_2
; %bb.1:
	v_mov_b32_e32 v1, 0
	flat_load_b64 v[2:3], v1, s[6:7]
.LBB14_2:
	s_mov_b32 s3, exec_lo
	s_wait_loadcnt_dscnt 0x0
	s_delay_alu instid0(VALU_DEP_1)
	v_cmpx_neq_f64_e32 0, v[2:3]
	s_cbranch_execz .LBB14_5
; %bb.3:
	s_load_b32 s3, s[0:1], 0x54
	s_bfe_u32 s6, ttmp6, 0x4000c
	s_and_b32 s7, ttmp6, 15
	s_add_co_i32 s6, s6, 1
	s_getreg_b32 s8, hwreg(HW_REG_IB_STS2, 6, 4)
	s_mul_i32 s6, ttmp9, s6
	v_mov_b32_e32 v1, 0
	s_add_co_i32 s7, s7, s6
	s_wait_kmcnt 0x0
	s_and_b32 s3, s3, 0xffff
	s_cmp_eq_u32 s8, 0
	s_cselect_b32 s6, ttmp9, s7
	s_delay_alu instid0(SALU_CYCLE_1) | instskip(NEXT) | instid1(VALU_DEP_1)
	v_mad_u32 v0, s6, s3, v0
	v_cmp_gt_i64_e32 vcc_lo, s[4:5], v[0:1]
	s_and_b32 exec_lo, exec_lo, vcc_lo
	s_cbranch_execz .LBB14_5
; %bb.4:
	s_load_b256 s[4:11], s[0:1], 0x18
	v_lshlrev_b64_e32 v[4:5], 2, v[0:1]
	s_wait_xcnt 0x0
	s_load_b64 s[0:1], s[0:1], 0x38
	s_wait_kmcnt 0x0
	s_delay_alu instid0(VALU_DEP_1)
	v_add_nc_u64_e32 v[6:7], s[4:5], v[4:5]
	v_lshl_add_u64 v[0:1], v[0:1], 3, s[8:9]
	v_add_nc_u64_e32 v[4:5], s[6:7], v[4:5]
	global_load_b64 v[0:1], v[0:1], off
	global_load_b32 v6, v[6:7], off
	global_load_b32 v4, v[4:5], off
	s_wait_loadcnt 0x2
	s_wait_xcnt 0x2
	v_mul_f64_e32 v[0:1], v[2:3], v[0:1]
	s_wait_loadcnt 0x1
	s_wait_xcnt 0x1
	v_subrev_nc_u32_e32 v6, s2, v6
	s_wait_loadcnt 0x0
	v_subrev_nc_u32_e32 v2, s2, v4
	global_load_b64 v[6:7], v6, s[10:11] scale_offset
	s_wait_loadcnt 0x0
	v_mul_f64_e32 v[0:1], v[0:1], v[6:7]
	global_atomic_add_f64 v2, v[0:1], s[0:1] scale_offset scope:SCOPE_DEV
.LBB14_5:
	s_endpgm
	.section	.rodata,"a",@progbits
	.p2align	6, 0x0
	.amdhsa_kernel _ZN9rocsparseL13coomvt_kernelILj1024EiddddEEv20rocsparse_operation_lNS_24const_host_device_scalarIT4_EEPKT0_S7_PKT1_PKT2_PT3_21rocsparse_index_base_b
		.amdhsa_group_segment_fixed_size 0
		.amdhsa_private_segment_fixed_size 0
		.amdhsa_kernarg_size 328
		.amdhsa_user_sgpr_count 2
		.amdhsa_user_sgpr_dispatch_ptr 0
		.amdhsa_user_sgpr_queue_ptr 0
		.amdhsa_user_sgpr_kernarg_segment_ptr 1
		.amdhsa_user_sgpr_dispatch_id 0
		.amdhsa_user_sgpr_kernarg_preload_length 0
		.amdhsa_user_sgpr_kernarg_preload_offset 0
		.amdhsa_user_sgpr_private_segment_size 0
		.amdhsa_wavefront_size32 1
		.amdhsa_uses_dynamic_stack 0
		.amdhsa_enable_private_segment 0
		.amdhsa_system_sgpr_workgroup_id_x 1
		.amdhsa_system_sgpr_workgroup_id_y 0
		.amdhsa_system_sgpr_workgroup_id_z 0
		.amdhsa_system_sgpr_workgroup_info 0
		.amdhsa_system_vgpr_workitem_id 0
		.amdhsa_next_free_vgpr 8
		.amdhsa_next_free_sgpr 12
		.amdhsa_named_barrier_count 0
		.amdhsa_reserve_vcc 1
		.amdhsa_float_round_mode_32 0
		.amdhsa_float_round_mode_16_64 0
		.amdhsa_float_denorm_mode_32 3
		.amdhsa_float_denorm_mode_16_64 3
		.amdhsa_fp16_overflow 0
		.amdhsa_memory_ordered 1
		.amdhsa_forward_progress 1
		.amdhsa_inst_pref_size 3
		.amdhsa_round_robin_scheduling 0
		.amdhsa_exception_fp_ieee_invalid_op 0
		.amdhsa_exception_fp_denorm_src 0
		.amdhsa_exception_fp_ieee_div_zero 0
		.amdhsa_exception_fp_ieee_overflow 0
		.amdhsa_exception_fp_ieee_underflow 0
		.amdhsa_exception_fp_ieee_inexact 0
		.amdhsa_exception_int_div_zero 0
	.end_amdhsa_kernel
	.section	.text._ZN9rocsparseL13coomvt_kernelILj1024EiddddEEv20rocsparse_operation_lNS_24const_host_device_scalarIT4_EEPKT0_S7_PKT1_PKT2_PT3_21rocsparse_index_base_b,"axG",@progbits,_ZN9rocsparseL13coomvt_kernelILj1024EiddddEEv20rocsparse_operation_lNS_24const_host_device_scalarIT4_EEPKT0_S7_PKT1_PKT2_PT3_21rocsparse_index_base_b,comdat
.Lfunc_end14:
	.size	_ZN9rocsparseL13coomvt_kernelILj1024EiddddEEv20rocsparse_operation_lNS_24const_host_device_scalarIT4_EEPKT0_S7_PKT1_PKT2_PT3_21rocsparse_index_base_b, .Lfunc_end14-_ZN9rocsparseL13coomvt_kernelILj1024EiddddEEv20rocsparse_operation_lNS_24const_host_device_scalarIT4_EEPKT0_S7_PKT1_PKT2_PT3_21rocsparse_index_base_b
                                        ; -- End function
	.set _ZN9rocsparseL13coomvt_kernelILj1024EiddddEEv20rocsparse_operation_lNS_24const_host_device_scalarIT4_EEPKT0_S7_PKT1_PKT2_PT3_21rocsparse_index_base_b.num_vgpr, 8
	.set _ZN9rocsparseL13coomvt_kernelILj1024EiddddEEv20rocsparse_operation_lNS_24const_host_device_scalarIT4_EEPKT0_S7_PKT1_PKT2_PT3_21rocsparse_index_base_b.num_agpr, 0
	.set _ZN9rocsparseL13coomvt_kernelILj1024EiddddEEv20rocsparse_operation_lNS_24const_host_device_scalarIT4_EEPKT0_S7_PKT1_PKT2_PT3_21rocsparse_index_base_b.numbered_sgpr, 12
	.set _ZN9rocsparseL13coomvt_kernelILj1024EiddddEEv20rocsparse_operation_lNS_24const_host_device_scalarIT4_EEPKT0_S7_PKT1_PKT2_PT3_21rocsparse_index_base_b.num_named_barrier, 0
	.set _ZN9rocsparseL13coomvt_kernelILj1024EiddddEEv20rocsparse_operation_lNS_24const_host_device_scalarIT4_EEPKT0_S7_PKT1_PKT2_PT3_21rocsparse_index_base_b.private_seg_size, 0
	.set _ZN9rocsparseL13coomvt_kernelILj1024EiddddEEv20rocsparse_operation_lNS_24const_host_device_scalarIT4_EEPKT0_S7_PKT1_PKT2_PT3_21rocsparse_index_base_b.uses_vcc, 1
	.set _ZN9rocsparseL13coomvt_kernelILj1024EiddddEEv20rocsparse_operation_lNS_24const_host_device_scalarIT4_EEPKT0_S7_PKT1_PKT2_PT3_21rocsparse_index_base_b.uses_flat_scratch, 0
	.set _ZN9rocsparseL13coomvt_kernelILj1024EiddddEEv20rocsparse_operation_lNS_24const_host_device_scalarIT4_EEPKT0_S7_PKT1_PKT2_PT3_21rocsparse_index_base_b.has_dyn_sized_stack, 0
	.set _ZN9rocsparseL13coomvt_kernelILj1024EiddddEEv20rocsparse_operation_lNS_24const_host_device_scalarIT4_EEPKT0_S7_PKT1_PKT2_PT3_21rocsparse_index_base_b.has_recursion, 0
	.set _ZN9rocsparseL13coomvt_kernelILj1024EiddddEEv20rocsparse_operation_lNS_24const_host_device_scalarIT4_EEPKT0_S7_PKT1_PKT2_PT3_21rocsparse_index_base_b.has_indirect_call, 0
	.section	.AMDGPU.csdata,"",@progbits
; Kernel info:
; codeLenInByte = 320
; TotalNumSgprs: 14
; NumVgprs: 8
; ScratchSize: 0
; MemoryBound: 0
; FloatMode: 240
; IeeeMode: 1
; LDSByteSize: 0 bytes/workgroup (compile time only)
; SGPRBlocks: 0
; VGPRBlocks: 0
; NumSGPRsForWavesPerEU: 14
; NumVGPRsForWavesPerEU: 8
; NamedBarCnt: 0
; Occupancy: 16
; WaveLimiterHint : 1
; COMPUTE_PGM_RSRC2:SCRATCH_EN: 0
; COMPUTE_PGM_RSRC2:USER_SGPR: 2
; COMPUTE_PGM_RSRC2:TRAP_HANDLER: 0
; COMPUTE_PGM_RSRC2:TGID_X_EN: 1
; COMPUTE_PGM_RSRC2:TGID_Y_EN: 0
; COMPUTE_PGM_RSRC2:TGID_Z_EN: 0
; COMPUTE_PGM_RSRC2:TIDIG_COMP_CNT: 0
	.section	.text._ZN9rocsparseL19coomvn_atomic_loopsILj256ELj1EiddddEEvlNS_24const_host_device_scalarIT5_EEPKT1_S6_PKT2_PKT3_PT4_21rocsparse_index_base_b,"axG",@progbits,_ZN9rocsparseL19coomvn_atomic_loopsILj256ELj1EiddddEEvlNS_24const_host_device_scalarIT5_EEPKT1_S6_PKT2_PKT3_PT4_21rocsparse_index_base_b,comdat
	.globl	_ZN9rocsparseL19coomvn_atomic_loopsILj256ELj1EiddddEEvlNS_24const_host_device_scalarIT5_EEPKT1_S6_PKT2_PKT3_PT4_21rocsparse_index_base_b ; -- Begin function _ZN9rocsparseL19coomvn_atomic_loopsILj256ELj1EiddddEEvlNS_24const_host_device_scalarIT5_EEPKT1_S6_PKT2_PKT3_PT4_21rocsparse_index_base_b
	.p2align	8
	.type	_ZN9rocsparseL19coomvn_atomic_loopsILj256ELj1EiddddEEvlNS_24const_host_device_scalarIT5_EEPKT1_S6_PKT2_PKT3_PT4_21rocsparse_index_base_b,@function
_ZN9rocsparseL19coomvn_atomic_loopsILj256ELj1EiddddEEvlNS_24const_host_device_scalarIT5_EEPKT1_S6_PKT2_PKT3_PT4_21rocsparse_index_base_b: ; @_ZN9rocsparseL19coomvn_atomic_loopsILj256ELj1EiddddEEvlNS_24const_host_device_scalarIT5_EEPKT1_S6_PKT2_PKT3_PT4_21rocsparse_index_base_b
; %bb.0:
	s_clause 0x1
	s_load_b64 s[2:3], s[0:1], 0x38
	s_load_b128 s[4:7], s[0:1], 0x0
	s_wait_kmcnt 0x0
	s_bitcmp1_b32 s3, 0
	v_mov_b64_e32 v[2:3], s[6:7]
	s_cselect_b32 s3, -1, 0
	s_delay_alu instid0(SALU_CYCLE_1)
	s_and_b32 vcc_lo, exec_lo, s3
	s_cbranch_vccnz .LBB15_2
; %bb.1:
	v_mov_b32_e32 v1, 0
	flat_load_b64 v[2:3], v1, s[6:7]
.LBB15_2:
	s_mov_b32 s3, exec_lo
	s_wait_loadcnt_dscnt 0x0
	s_delay_alu instid0(VALU_DEP_1)
	v_cmpx_neq_f64_e32 0, v[2:3]
	s_cbranch_execz .LBB15_42
; %bb.3:
	s_bfe_u32 s3, ttmp6, 0x4000c
	s_and_b32 s6, ttmp6, 15
	s_add_co_i32 s3, s3, 1
	s_getreg_b32 s7, hwreg(HW_REG_IB_STS2, 6, 4)
	s_mul_i32 s3, ttmp9, s3
	v_mov_b64_e32 v[4:5], 0
	s_add_co_i32 s6, s6, s3
	s_cmp_eq_u32 s7, 0
	v_dual_mov_b32 v7, 0 :: v_dual_mov_b32 v1, -1
	s_cselect_b32 s3, ttmp9, s6
	s_delay_alu instid0(SALU_CYCLE_1) | instskip(SKIP_1) | instid1(VALU_DEP_1)
	v_lshl_or_b32 v6, s3, 8, v0
	s_mov_b32 s3, exec_lo
	v_cmpx_gt_i64_e64 s[4:5], v[6:7]
	s_cbranch_execz .LBB15_5
; %bb.4:
	s_load_b256 s[4:11], s[0:1], 0x10
	v_lshlrev_b64_e32 v[4:5], 2, v[6:7]
	s_wait_kmcnt 0x0
	s_delay_alu instid0(VALU_DEP_1)
	v_add_nc_u64_e32 v[8:9], s[6:7], v[4:5]
	v_lshl_add_u64 v[6:7], v[6:7], 3, s[8:9]
	v_add_nc_u64_e32 v[4:5], s[4:5], v[4:5]
	global_load_b32 v1, v[8:9], off th:TH_LOAD_NT
	s_wait_loadcnt 0x0
	v_subrev_nc_u32_e32 v1, s2, v1
	global_load_b64 v[8:9], v[6:7], off th:TH_LOAD_NT
	global_load_b64 v[10:11], v1, s[10:11] scale_offset
	global_load_b32 v1, v[4:5], off th:TH_LOAD_NT
	s_wait_loadcnt 0x1
	s_wait_xcnt 0x0
	v_mul_f64_e32 v[4:5], v[8:9], v[10:11]
	s_wait_loadcnt 0x0
	v_subrev_nc_u32_e32 v1, s2, v1
.LBB15_5:
	s_or_b32 exec_lo, exec_lo, s3
	v_dual_lshlrev_b32 v8, 2, v0 :: v_dual_lshlrev_b32 v7, 3, v0
	s_mov_b32 s2, exec_lo
	ds_store_b32 v8, v1 offset:2048
	ds_store_b64 v7, v[4:5]
	v_or_b32_e32 v6, 0x800, v8
	s_wait_dscnt 0x0
	s_barrier_signal -1
	s_barrier_wait -1
	v_cmpx_ne_u32_e32 0, v0
	s_cbranch_execz .LBB15_9
; %bb.6:
	v_add_nc_u32_e32 v8, -4, v6
	s_mov_b32 s3, exec_lo
	ds_load_b32 v8, v8
	s_wait_dscnt 0x0
	v_cmpx_eq_u32_e64 v1, v8
	s_cbranch_execz .LBB15_8
; %bb.7:
	v_add_nc_u32_e32 v8, -8, v7
	ds_load_b64 v[8:9], v8
	s_wait_dscnt 0x0
	v_add_f64_e32 v[4:5], v[4:5], v[8:9]
.LBB15_8:
	s_or_b32 exec_lo, exec_lo, s3
.LBB15_9:
	s_delay_alu instid0(SALU_CYCLE_1) | instskip(NEXT) | instid1(SALU_CYCLE_1)
	s_or_b32 exec_lo, exec_lo, s2
	s_mov_b32 s2, exec_lo
	s_barrier_signal -1
	s_barrier_wait -1
	ds_store_b64 v7, v[4:5]
	s_wait_dscnt 0x0
	s_barrier_signal -1
	s_barrier_wait -1
	v_cmpx_lt_u32_e32 1, v0
	s_cbranch_execz .LBB15_13
; %bb.10:
	v_add_nc_u32_e32 v8, -8, v6
	s_mov_b32 s3, exec_lo
	ds_load_b32 v8, v8
	s_wait_dscnt 0x0
	v_cmpx_eq_u32_e64 v1, v8
	s_cbranch_execz .LBB15_12
; %bb.11:
	v_add_nc_u32_e32 v8, -16, v7
	ds_load_b64 v[8:9], v8
	s_wait_dscnt 0x0
	v_add_f64_e32 v[4:5], v[4:5], v[8:9]
.LBB15_12:
	s_or_b32 exec_lo, exec_lo, s3
.LBB15_13:
	s_delay_alu instid0(SALU_CYCLE_1) | instskip(NEXT) | instid1(SALU_CYCLE_1)
	s_or_b32 exec_lo, exec_lo, s2
	s_mov_b32 s2, exec_lo
	s_barrier_signal -1
	s_barrier_wait -1
	ds_store_b64 v7, v[4:5]
	s_wait_dscnt 0x0
	s_barrier_signal -1
	s_barrier_wait -1
	v_cmpx_lt_u32_e32 3, v0
	s_cbranch_execz .LBB15_17
; %bb.14:
	v_add_nc_u32_e32 v8, -16, v6
	s_mov_b32 s3, exec_lo
	ds_load_b32 v8, v8
	s_wait_dscnt 0x0
	v_cmpx_eq_u32_e64 v1, v8
	s_cbranch_execz .LBB15_16
; %bb.15:
	v_subrev_nc_u32_e32 v8, 32, v7
	ds_load_b64 v[8:9], v8
	s_wait_dscnt 0x0
	v_add_f64_e32 v[4:5], v[4:5], v[8:9]
.LBB15_16:
	s_or_b32 exec_lo, exec_lo, s3
.LBB15_17:
	s_delay_alu instid0(SALU_CYCLE_1) | instskip(NEXT) | instid1(SALU_CYCLE_1)
	s_or_b32 exec_lo, exec_lo, s2
	s_mov_b32 s2, exec_lo
	s_barrier_signal -1
	s_barrier_wait -1
	ds_store_b64 v7, v[4:5]
	s_wait_dscnt 0x0
	s_barrier_signal -1
	s_barrier_wait -1
	v_cmpx_lt_u32_e32 7, v0
	s_cbranch_execz .LBB15_21
; %bb.18:
	v_subrev_nc_u32_e32 v8, 32, v6
	s_mov_b32 s3, exec_lo
	ds_load_b32 v8, v8
	s_wait_dscnt 0x0
	v_cmpx_eq_u32_e64 v1, v8
	s_cbranch_execz .LBB15_20
; %bb.19:
	v_subrev_nc_u32_e32 v8, 64, v7
	ds_load_b64 v[8:9], v8
	s_wait_dscnt 0x0
	v_add_f64_e32 v[4:5], v[4:5], v[8:9]
.LBB15_20:
	s_or_b32 exec_lo, exec_lo, s3
.LBB15_21:
	s_delay_alu instid0(SALU_CYCLE_1) | instskip(NEXT) | instid1(SALU_CYCLE_1)
	s_or_b32 exec_lo, exec_lo, s2
	s_mov_b32 s2, exec_lo
	s_barrier_signal -1
	s_barrier_wait -1
	ds_store_b64 v7, v[4:5]
	s_wait_dscnt 0x0
	s_barrier_signal -1
	s_barrier_wait -1
	v_cmpx_lt_u32_e32 15, v0
	s_cbranch_execz .LBB15_25
; %bb.22:
	v_subrev_nc_u32_e32 v8, 64, v6
	s_mov_b32 s3, exec_lo
	ds_load_b32 v8, v8
	s_wait_dscnt 0x0
	v_cmpx_eq_u32_e64 v1, v8
	s_cbranch_execz .LBB15_24
; %bb.23:
	v_add_nc_u32_e32 v8, 0xffffff80, v7
	ds_load_b64 v[8:9], v8
	s_wait_dscnt 0x0
	v_add_f64_e32 v[4:5], v[4:5], v[8:9]
.LBB15_24:
	s_or_b32 exec_lo, exec_lo, s3
.LBB15_25:
	s_delay_alu instid0(SALU_CYCLE_1) | instskip(NEXT) | instid1(SALU_CYCLE_1)
	s_or_b32 exec_lo, exec_lo, s2
	s_mov_b32 s2, exec_lo
	s_barrier_signal -1
	s_barrier_wait -1
	ds_store_b64 v7, v[4:5]
	s_wait_dscnt 0x0
	s_barrier_signal -1
	s_barrier_wait -1
	v_cmpx_lt_u32_e32 31, v0
	s_cbranch_execz .LBB15_29
; %bb.26:
	v_add_nc_u32_e32 v8, 0xffffff80, v6
	s_mov_b32 s3, exec_lo
	ds_load_b32 v8, v8
	s_wait_dscnt 0x0
	v_cmpx_eq_u32_e64 v1, v8
	s_cbranch_execz .LBB15_28
; %bb.27:
	v_add_nc_u32_e32 v8, 0xffffff00, v7
	ds_load_b64 v[8:9], v8
	s_wait_dscnt 0x0
	v_add_f64_e32 v[4:5], v[4:5], v[8:9]
.LBB15_28:
	s_or_b32 exec_lo, exec_lo, s3
.LBB15_29:
	s_delay_alu instid0(SALU_CYCLE_1) | instskip(NEXT) | instid1(SALU_CYCLE_1)
	s_or_b32 exec_lo, exec_lo, s2
	s_mov_b32 s2, exec_lo
	s_barrier_signal -1
	s_barrier_wait -1
	ds_store_b64 v7, v[4:5]
	s_wait_dscnt 0x0
	s_barrier_signal -1
	s_barrier_wait -1
	v_cmpx_lt_u32_e32 63, v0
	s_cbranch_execz .LBB15_33
; %bb.30:
	v_add_nc_u32_e32 v8, 0xffffff00, v6
	s_mov_b32 s3, exec_lo
	ds_load_b32 v8, v8
	s_wait_dscnt 0x0
	v_cmpx_eq_u32_e64 v1, v8
	s_cbranch_execz .LBB15_32
; %bb.31:
	v_add_nc_u32_e32 v8, 0xfffffe00, v7
	ds_load_b64 v[8:9], v8
	s_wait_dscnt 0x0
	v_add_f64_e32 v[4:5], v[4:5], v[8:9]
.LBB15_32:
	s_or_b32 exec_lo, exec_lo, s3
.LBB15_33:
	s_delay_alu instid0(SALU_CYCLE_1)
	s_or_b32 exec_lo, exec_lo, s2
	s_load_b64 s[2:3], s[0:1], 0x30
	s_wait_xcnt 0x0
	s_mov_b32 s0, exec_lo
	s_barrier_signal -1
	s_barrier_wait -1
	ds_store_b64 v7, v[4:5]
	s_wait_dscnt 0x0
	s_barrier_signal -1
	s_barrier_wait -1
	v_cmpx_lt_u32_e32 0x7f, v0
	s_cbranch_execz .LBB15_37
; %bb.34:
	v_add_nc_u32_e32 v8, 0xfffffe00, v6
	s_mov_b32 s1, exec_lo
	ds_load_b32 v8, v8
	s_wait_dscnt 0x0
	v_cmpx_eq_u32_e64 v1, v8
	s_cbranch_execz .LBB15_36
; %bb.35:
	v_add_nc_u32_e32 v8, 0xfffffc00, v7
	ds_load_b64 v[8:9], v8
	s_wait_dscnt 0x0
	v_add_f64_e32 v[4:5], v[4:5], v[8:9]
.LBB15_36:
	s_or_b32 exec_lo, exec_lo, s1
.LBB15_37:
	s_delay_alu instid0(SALU_CYCLE_1) | instskip(NEXT) | instid1(SALU_CYCLE_1)
	s_or_b32 exec_lo, exec_lo, s0
	s_mov_b32 s1, exec_lo
	s_barrier_signal -1
	s_barrier_wait -1
	ds_store_b64 v7, v[4:5]
	s_wait_dscnt 0x0
	s_barrier_signal -1
	s_barrier_wait -1
	v_cmpx_gt_u32_e32 0xff, v0
	s_cbranch_execz .LBB15_40
; %bb.38:
	ds_load_b32 v6, v6 offset:4
	v_cmp_lt_i32_e64 s0, -1, v1
	s_wait_dscnt 0x0
	v_cmp_ne_u32_e32 vcc_lo, v1, v6
	s_and_b32 s0, s0, vcc_lo
	s_delay_alu instid0(SALU_CYCLE_1)
	s_and_b32 exec_lo, exec_lo, s0
	s_cbranch_execz .LBB15_40
; %bb.39:
	v_mul_f64_e32 v[6:7], v[2:3], v[4:5]
	s_wait_kmcnt 0x0
	global_atomic_add_f64 v1, v[6:7], s[2:3] scale_offset scope:SCOPE_DEV
.LBB15_40:
	s_wait_xcnt 0x0
	s_or_b32 exec_lo, exec_lo, s1
	v_cmp_eq_u32_e32 vcc_lo, 0xff, v0
	v_cmp_lt_i32_e64 s0, -1, v1
	s_and_b32 s0, vcc_lo, s0
	s_delay_alu instid0(SALU_CYCLE_1)
	s_and_b32 exec_lo, exec_lo, s0
	s_cbranch_execz .LBB15_42
; %bb.41:
	v_mul_f64_e32 v[2:3], v[2:3], v[4:5]
	s_wait_kmcnt 0x0
	global_atomic_add_f64 v1, v[2:3], s[2:3] scale_offset scope:SCOPE_DEV
.LBB15_42:
	s_endpgm
	.section	.rodata,"a",@progbits
	.p2align	6, 0x0
	.amdhsa_kernel _ZN9rocsparseL19coomvn_atomic_loopsILj256ELj1EiddddEEvlNS_24const_host_device_scalarIT5_EEPKT1_S6_PKT2_PKT3_PT4_21rocsparse_index_base_b
		.amdhsa_group_segment_fixed_size 3072
		.amdhsa_private_segment_fixed_size 0
		.amdhsa_kernarg_size 64
		.amdhsa_user_sgpr_count 2
		.amdhsa_user_sgpr_dispatch_ptr 0
		.amdhsa_user_sgpr_queue_ptr 0
		.amdhsa_user_sgpr_kernarg_segment_ptr 1
		.amdhsa_user_sgpr_dispatch_id 0
		.amdhsa_user_sgpr_kernarg_preload_length 0
		.amdhsa_user_sgpr_kernarg_preload_offset 0
		.amdhsa_user_sgpr_private_segment_size 0
		.amdhsa_wavefront_size32 1
		.amdhsa_uses_dynamic_stack 0
		.amdhsa_enable_private_segment 0
		.amdhsa_system_sgpr_workgroup_id_x 1
		.amdhsa_system_sgpr_workgroup_id_y 0
		.amdhsa_system_sgpr_workgroup_id_z 0
		.amdhsa_system_sgpr_workgroup_info 0
		.amdhsa_system_vgpr_workitem_id 0
		.amdhsa_next_free_vgpr 12
		.amdhsa_next_free_sgpr 12
		.amdhsa_named_barrier_count 0
		.amdhsa_reserve_vcc 1
		.amdhsa_float_round_mode_32 0
		.amdhsa_float_round_mode_16_64 0
		.amdhsa_float_denorm_mode_32 3
		.amdhsa_float_denorm_mode_16_64 3
		.amdhsa_fp16_overflow 0
		.amdhsa_memory_ordered 1
		.amdhsa_forward_progress 1
		.amdhsa_inst_pref_size 11
		.amdhsa_round_robin_scheduling 0
		.amdhsa_exception_fp_ieee_invalid_op 0
		.amdhsa_exception_fp_denorm_src 0
		.amdhsa_exception_fp_ieee_div_zero 0
		.amdhsa_exception_fp_ieee_overflow 0
		.amdhsa_exception_fp_ieee_underflow 0
		.amdhsa_exception_fp_ieee_inexact 0
		.amdhsa_exception_int_div_zero 0
	.end_amdhsa_kernel
	.section	.text._ZN9rocsparseL19coomvn_atomic_loopsILj256ELj1EiddddEEvlNS_24const_host_device_scalarIT5_EEPKT1_S6_PKT2_PKT3_PT4_21rocsparse_index_base_b,"axG",@progbits,_ZN9rocsparseL19coomvn_atomic_loopsILj256ELj1EiddddEEvlNS_24const_host_device_scalarIT5_EEPKT1_S6_PKT2_PKT3_PT4_21rocsparse_index_base_b,comdat
.Lfunc_end15:
	.size	_ZN9rocsparseL19coomvn_atomic_loopsILj256ELj1EiddddEEvlNS_24const_host_device_scalarIT5_EEPKT1_S6_PKT2_PKT3_PT4_21rocsparse_index_base_b, .Lfunc_end15-_ZN9rocsparseL19coomvn_atomic_loopsILj256ELj1EiddddEEvlNS_24const_host_device_scalarIT5_EEPKT1_S6_PKT2_PKT3_PT4_21rocsparse_index_base_b
                                        ; -- End function
	.set _ZN9rocsparseL19coomvn_atomic_loopsILj256ELj1EiddddEEvlNS_24const_host_device_scalarIT5_EEPKT1_S6_PKT2_PKT3_PT4_21rocsparse_index_base_b.num_vgpr, 12
	.set _ZN9rocsparseL19coomvn_atomic_loopsILj256ELj1EiddddEEvlNS_24const_host_device_scalarIT5_EEPKT1_S6_PKT2_PKT3_PT4_21rocsparse_index_base_b.num_agpr, 0
	.set _ZN9rocsparseL19coomvn_atomic_loopsILj256ELj1EiddddEEvlNS_24const_host_device_scalarIT5_EEPKT1_S6_PKT2_PKT3_PT4_21rocsparse_index_base_b.numbered_sgpr, 12
	.set _ZN9rocsparseL19coomvn_atomic_loopsILj256ELj1EiddddEEvlNS_24const_host_device_scalarIT5_EEPKT1_S6_PKT2_PKT3_PT4_21rocsparse_index_base_b.num_named_barrier, 0
	.set _ZN9rocsparseL19coomvn_atomic_loopsILj256ELj1EiddddEEvlNS_24const_host_device_scalarIT5_EEPKT1_S6_PKT2_PKT3_PT4_21rocsparse_index_base_b.private_seg_size, 0
	.set _ZN9rocsparseL19coomvn_atomic_loopsILj256ELj1EiddddEEvlNS_24const_host_device_scalarIT5_EEPKT1_S6_PKT2_PKT3_PT4_21rocsparse_index_base_b.uses_vcc, 1
	.set _ZN9rocsparseL19coomvn_atomic_loopsILj256ELj1EiddddEEvlNS_24const_host_device_scalarIT5_EEPKT1_S6_PKT2_PKT3_PT4_21rocsparse_index_base_b.uses_flat_scratch, 0
	.set _ZN9rocsparseL19coomvn_atomic_loopsILj256ELj1EiddddEEvlNS_24const_host_device_scalarIT5_EEPKT1_S6_PKT2_PKT3_PT4_21rocsparse_index_base_b.has_dyn_sized_stack, 0
	.set _ZN9rocsparseL19coomvn_atomic_loopsILj256ELj1EiddddEEvlNS_24const_host_device_scalarIT5_EEPKT1_S6_PKT2_PKT3_PT4_21rocsparse_index_base_b.has_recursion, 0
	.set _ZN9rocsparseL19coomvn_atomic_loopsILj256ELj1EiddddEEvlNS_24const_host_device_scalarIT5_EEPKT1_S6_PKT2_PKT3_PT4_21rocsparse_index_base_b.has_indirect_call, 0
	.section	.AMDGPU.csdata,"",@progbits
; Kernel info:
; codeLenInByte = 1344
; TotalNumSgprs: 14
; NumVgprs: 12
; ScratchSize: 0
; MemoryBound: 0
; FloatMode: 240
; IeeeMode: 1
; LDSByteSize: 3072 bytes/workgroup (compile time only)
; SGPRBlocks: 0
; VGPRBlocks: 0
; NumSGPRsForWavesPerEU: 14
; NumVGPRsForWavesPerEU: 12
; NamedBarCnt: 0
; Occupancy: 16
; WaveLimiterHint : 1
; COMPUTE_PGM_RSRC2:SCRATCH_EN: 0
; COMPUTE_PGM_RSRC2:USER_SGPR: 2
; COMPUTE_PGM_RSRC2:TRAP_HANDLER: 0
; COMPUTE_PGM_RSRC2:TGID_X_EN: 1
; COMPUTE_PGM_RSRC2:TGID_Y_EN: 0
; COMPUTE_PGM_RSRC2:TGID_Z_EN: 0
; COMPUTE_PGM_RSRC2:TIDIG_COMP_CNT: 0
	.section	.text._ZN9rocsparseL19coomvn_atomic_loopsILj256ELj2EiddddEEvlNS_24const_host_device_scalarIT5_EEPKT1_S6_PKT2_PKT3_PT4_21rocsparse_index_base_b,"axG",@progbits,_ZN9rocsparseL19coomvn_atomic_loopsILj256ELj2EiddddEEvlNS_24const_host_device_scalarIT5_EEPKT1_S6_PKT2_PKT3_PT4_21rocsparse_index_base_b,comdat
	.globl	_ZN9rocsparseL19coomvn_atomic_loopsILj256ELj2EiddddEEvlNS_24const_host_device_scalarIT5_EEPKT1_S6_PKT2_PKT3_PT4_21rocsparse_index_base_b ; -- Begin function _ZN9rocsparseL19coomvn_atomic_loopsILj256ELj2EiddddEEvlNS_24const_host_device_scalarIT5_EEPKT1_S6_PKT2_PKT3_PT4_21rocsparse_index_base_b
	.p2align	8
	.type	_ZN9rocsparseL19coomvn_atomic_loopsILj256ELj2EiddddEEvlNS_24const_host_device_scalarIT5_EEPKT1_S6_PKT2_PKT3_PT4_21rocsparse_index_base_b,@function
_ZN9rocsparseL19coomvn_atomic_loopsILj256ELj2EiddddEEvlNS_24const_host_device_scalarIT5_EEPKT1_S6_PKT2_PKT3_PT4_21rocsparse_index_base_b: ; @_ZN9rocsparseL19coomvn_atomic_loopsILj256ELj2EiddddEEvlNS_24const_host_device_scalarIT5_EEPKT1_S6_PKT2_PKT3_PT4_21rocsparse_index_base_b
; %bb.0:
	s_clause 0x1
	s_load_b64 s[24:25], s[0:1], 0x38
	s_load_b128 s[20:23], s[0:1], 0x0
	s_wait_kmcnt 0x0
	s_bitcmp1_b32 s25, 0
	v_mov_b64_e32 v[2:3], s[22:23]
	s_cselect_b32 s2, -1, 0
	s_delay_alu instid0(SALU_CYCLE_1)
	s_and_b32 vcc_lo, exec_lo, s2
	s_cbranch_vccnz .LBB16_2
; %bb.1:
	v_mov_b32_e32 v1, 0
	flat_load_b64 v[2:3], v1, s[22:23]
.LBB16_2:
	s_mov_b32 s2, exec_lo
	s_wait_loadcnt_dscnt 0x0
	s_delay_alu instid0(VALU_DEP_1)
	v_cmpx_neq_f64_e32 0, v[2:3]
	s_cbranch_execz .LBB16_90
; %bb.3:
	s_load_b256 s[12:19], s[0:1], 0x10
	s_bfe_u32 s2, ttmp6, 0x4000c
	s_and_b32 s3, ttmp6, 15
	s_add_co_i32 s2, s2, 1
	s_getreg_b32 s4, hwreg(HW_REG_IB_STS2, 6, 4)
	s_mul_i32 s2, ttmp9, s2
	v_dual_mov_b32 v9, 0 :: v_dual_mov_b32 v21, -1
	s_add_co_i32 s3, s3, s2
	s_cmp_eq_u32 s4, 0
	v_mov_b64_e32 v[10:11], 0
	s_cselect_b32 s2, ttmp9, s3
	s_delay_alu instid0(SALU_CYCLE_1) | instskip(SKIP_1) | instid1(VALU_DEP_1)
	v_lshl_or_b32 v8, s2, 9, v0
	s_mov_b32 s2, exec_lo
	v_lshlrev_b64_e32 v[4:5], 2, v[8:9]
	s_wait_kmcnt 0x0
	v_lshl_add_u64 v[6:7], v[8:9], 3, s[16:17]
	v_cmpx_gt_i64_e64 s[20:21], v[8:9]
	s_cbranch_execz .LBB16_5
; %bb.4:
	s_delay_alu instid0(VALU_DEP_3)
	v_add_nc_u64_e32 v[10:11], s[14:15], v[4:5]
	v_add_nc_u64_e32 v[14:15], s[12:13], v[4:5]
	global_load_b32 v1, v[10:11], off th:TH_LOAD_NT
	s_wait_loadcnt 0x0
	v_subrev_nc_u32_e32 v1, s24, v1
	global_load_b64 v[10:11], v[6:7], off th:TH_LOAD_NT
	global_load_b64 v[12:13], v1, s[18:19] scale_offset
	global_load_b32 v1, v[14:15], off th:TH_LOAD_NT
	s_wait_loadcnt 0x1
	v_mul_f64_e32 v[10:11], v[10:11], v[12:13]
	s_wait_loadcnt 0x0
	v_subrev_nc_u32_e32 v21, s24, v1
.LBB16_5:
	s_or_b32 exec_lo, exec_lo, s2
	v_dual_lshlrev_b32 v13, 2, v0 :: v_dual_lshlrev_b32 v12, 3, v0
	v_cmp_ne_u32_e64 s2, 0, v0
	v_cmp_eq_u32_e32 vcc_lo, 0, v0
	ds_store_b32 v13, v21 offset:2048
	ds_store_b64 v12, v[10:11]
	v_or_b32_e32 v1, 0x800, v13
	s_wait_dscnt 0x0
	s_barrier_signal -1
	s_barrier_wait -1
	s_delay_alu instid0(VALU_DEP_1)
	v_add_nc_u32_e32 v13, -4, v1
	s_and_saveexec_b32 s4, s2
	s_cbranch_execz .LBB16_9
; %bb.6:
	ds_load_b32 v14, v13
	s_mov_b32 s5, exec_lo
	s_wait_dscnt 0x0
	v_cmpx_eq_u32_e64 v21, v14
	s_cbranch_execz .LBB16_8
; %bb.7:
	v_add_nc_u32_e32 v14, -8, v12
	ds_load_b64 v[14:15], v14
	s_wait_dscnt 0x0
	v_add_f64_e32 v[10:11], v[10:11], v[14:15]
.LBB16_8:
	s_or_b32 exec_lo, exec_lo, s5
.LBB16_9:
	s_delay_alu instid0(SALU_CYCLE_1)
	s_or_b32 exec_lo, exec_lo, s4
	v_cmp_lt_u32_e64 s3, 1, v0
	v_add_nc_u32_e32 v14, -8, v1
	s_barrier_signal -1
	s_barrier_wait -1
	ds_store_b64 v12, v[10:11]
	s_wait_dscnt 0x0
	s_barrier_signal -1
	s_barrier_wait -1
	s_and_saveexec_b32 s5, s3
	s_cbranch_execz .LBB16_13
; %bb.10:
	ds_load_b32 v15, v14
	s_mov_b32 s6, exec_lo
	s_wait_dscnt 0x0
	v_cmpx_eq_u32_e64 v21, v15
	s_cbranch_execz .LBB16_12
; %bb.11:
	v_add_nc_u32_e32 v15, -16, v12
	ds_load_b64 v[16:17], v15
	s_wait_dscnt 0x0
	v_add_f64_e32 v[10:11], v[10:11], v[16:17]
.LBB16_12:
	s_or_b32 exec_lo, exec_lo, s6
.LBB16_13:
	s_delay_alu instid0(SALU_CYCLE_1)
	s_or_b32 exec_lo, exec_lo, s5
	v_cmp_lt_u32_e64 s4, 3, v0
	v_add_nc_u32_e32 v15, -16, v1
	s_barrier_signal -1
	s_barrier_wait -1
	ds_store_b64 v12, v[10:11]
	s_wait_dscnt 0x0
	s_barrier_signal -1
	s_barrier_wait -1
	s_and_saveexec_b32 s6, s4
	s_cbranch_execz .LBB16_17
; %bb.14:
	ds_load_b32 v16, v15
	s_mov_b32 s7, exec_lo
	s_wait_dscnt 0x0
	v_cmpx_eq_u32_e64 v21, v16
	s_cbranch_execz .LBB16_16
; %bb.15:
	v_subrev_nc_u32_e32 v16, 32, v12
	ds_load_b64 v[16:17], v16
	s_wait_dscnt 0x0
	v_add_f64_e32 v[10:11], v[10:11], v[16:17]
.LBB16_16:
	s_or_b32 exec_lo, exec_lo, s7
.LBB16_17:
	s_delay_alu instid0(SALU_CYCLE_1)
	s_or_b32 exec_lo, exec_lo, s6
	v_cmp_lt_u32_e64 s5, 7, v0
	v_subrev_nc_u32_e32 v16, 32, v1
	s_barrier_signal -1
	s_barrier_wait -1
	ds_store_b64 v12, v[10:11]
	s_wait_dscnt 0x0
	s_barrier_signal -1
	s_barrier_wait -1
	s_and_saveexec_b32 s7, s5
	s_cbranch_execz .LBB16_21
; %bb.18:
	ds_load_b32 v17, v16
	s_mov_b32 s8, exec_lo
	s_wait_dscnt 0x0
	v_cmpx_eq_u32_e64 v21, v17
	s_cbranch_execz .LBB16_20
; %bb.19:
	v_subrev_nc_u32_e32 v17, 64, v12
	ds_load_b64 v[18:19], v17
	s_wait_dscnt 0x0
	v_add_f64_e32 v[10:11], v[10:11], v[18:19]
.LBB16_20:
	s_or_b32 exec_lo, exec_lo, s8
.LBB16_21:
	s_delay_alu instid0(SALU_CYCLE_1)
	s_or_b32 exec_lo, exec_lo, s7
	v_cmp_lt_u32_e64 s6, 15, v0
	v_subrev_nc_u32_e32 v17, 64, v1
	s_barrier_signal -1
	s_barrier_wait -1
	ds_store_b64 v12, v[10:11]
	s_wait_dscnt 0x0
	s_barrier_signal -1
	s_barrier_wait -1
	s_and_saveexec_b32 s8, s6
	s_cbranch_execz .LBB16_25
; %bb.22:
	ds_load_b32 v18, v17
	s_mov_b32 s9, exec_lo
	s_wait_dscnt 0x0
	v_cmpx_eq_u32_e64 v21, v18
	s_cbranch_execz .LBB16_24
; %bb.23:
	v_add_nc_u32_e32 v18, 0xffffff80, v12
	ds_load_b64 v[18:19], v18
	s_wait_dscnt 0x0
	v_add_f64_e32 v[10:11], v[10:11], v[18:19]
.LBB16_24:
	s_or_b32 exec_lo, exec_lo, s9
.LBB16_25:
	s_delay_alu instid0(SALU_CYCLE_1)
	s_or_b32 exec_lo, exec_lo, s8
	v_cmp_lt_u32_e64 s7, 31, v0
	v_add_nc_u32_e32 v18, 0xffffff80, v1
	s_barrier_signal -1
	s_barrier_wait -1
	ds_store_b64 v12, v[10:11]
	s_wait_dscnt 0x0
	s_barrier_signal -1
	s_barrier_wait -1
	s_and_saveexec_b32 s9, s7
	s_cbranch_execz .LBB16_29
; %bb.26:
	ds_load_b32 v19, v18
	s_mov_b32 s10, exec_lo
	s_wait_dscnt 0x0
	v_cmpx_eq_u32_e64 v21, v19
	s_cbranch_execz .LBB16_28
; %bb.27:
	v_add_nc_u32_e32 v19, 0xffffff00, v12
	ds_load_b64 v[22:23], v19
	s_wait_dscnt 0x0
	v_add_f64_e32 v[10:11], v[10:11], v[22:23]
.LBB16_28:
	s_or_b32 exec_lo, exec_lo, s10
.LBB16_29:
	s_delay_alu instid0(SALU_CYCLE_1)
	s_or_b32 exec_lo, exec_lo, s9
	v_cmp_lt_u32_e64 s8, 63, v0
	v_add_nc_u32_e32 v19, 0xffffff00, v1
	s_barrier_signal -1
	s_barrier_wait -1
	ds_store_b64 v12, v[10:11]
	s_wait_dscnt 0x0
	s_barrier_signal -1
	s_barrier_wait -1
	s_and_saveexec_b32 s10, s8
	s_cbranch_execz .LBB16_33
; %bb.30:
	ds_load_b32 v20, v19
	s_mov_b32 s11, exec_lo
	s_wait_dscnt 0x0
	v_cmpx_eq_u32_e64 v21, v20
	s_cbranch_execz .LBB16_32
; %bb.31:
	v_add_nc_u32_e32 v20, 0xfffffe00, v12
	ds_load_b64 v[22:23], v20
	s_wait_dscnt 0x0
	v_add_f64_e32 v[10:11], v[10:11], v[22:23]
.LBB16_32:
	s_or_b32 exec_lo, exec_lo, s11
.LBB16_33:
	s_delay_alu instid0(SALU_CYCLE_1)
	s_or_b32 exec_lo, exec_lo, s10
	s_load_b64 s[16:17], s[0:1], 0x30
	s_wait_xcnt 0x0
	v_cmp_lt_u32_e64 s0, 0x7f, v0
	v_add_nc_u32_e32 v20, 0xfffffe00, v1
	s_barrier_signal -1
	s_barrier_wait -1
	ds_store_b64 v12, v[10:11]
	s_wait_dscnt 0x0
	s_barrier_signal -1
	s_barrier_wait -1
	s_and_saveexec_b32 s9, s0
	s_cbranch_execz .LBB16_37
; %bb.34:
	ds_load_b32 v22, v20
	s_mov_b32 s10, exec_lo
	s_wait_dscnt 0x0
	v_cmpx_eq_u32_e64 v21, v22
	s_cbranch_execz .LBB16_36
; %bb.35:
	v_add_nc_u32_e32 v22, 0xfffffc00, v12
	ds_load_b64 v[22:23], v22
	s_wait_dscnt 0x0
	v_add_f64_e32 v[10:11], v[10:11], v[22:23]
.LBB16_36:
	s_or_b32 exec_lo, exec_lo, s10
.LBB16_37:
	s_delay_alu instid0(SALU_CYCLE_1)
	s_or_b32 exec_lo, exec_lo, s9
	v_cmp_gt_u32_e64 s1, 0xff, v0
	s_barrier_signal -1
	s_barrier_wait -1
	ds_store_b64 v12, v[10:11]
	s_wait_dscnt 0x0
	s_barrier_signal -1
	s_barrier_wait -1
	s_and_saveexec_b32 s11, s1
	s_cbranch_execz .LBB16_40
; %bb.38:
	ds_load_b32 v22, v1 offset:4
	v_cmp_lt_i32_e64 s10, -1, v21
	s_wait_dscnt 0x0
	v_cmp_ne_u32_e64 s9, v21, v22
	s_and_b32 s9, s10, s9
	s_delay_alu instid0(SALU_CYCLE_1)
	s_and_b32 exec_lo, exec_lo, s9
	s_cbranch_execz .LBB16_40
; %bb.39:
	v_mul_f64_e32 v[10:11], v[2:3], v[10:11]
	s_wait_kmcnt 0x0
	global_atomic_add_f64 v21, v[10:11], s[16:17] scale_offset scope:SCOPE_DEV
.LBB16_40:
	s_wait_xcnt 0x0
	s_or_b32 exec_lo, exec_lo, s11
	v_add_nc_u64_e32 v[8:9], 0x100, v[8:9]
	v_mov_b32_e32 v10, -1
	s_delay_alu instid0(VALU_DEP_2)
	v_cmp_gt_i64_e64 s9, s[20:21], v[8:9]
	v_mov_b64_e32 v[8:9], 0
	s_and_saveexec_b32 s10, s9
	s_cbranch_execz .LBB16_42
; %bb.41:
	v_add_nc_u64_e32 v[8:9], s[14:15], v[4:5]
	v_add_nc_u64_e32 v[4:5], s[12:13], v[4:5]
	global_load_b32 v8, v[8:9], off offset:1024 th:TH_LOAD_NT
	s_wait_loadcnt 0x0
	v_subrev_nc_u32_e32 v21, s24, v8
	global_load_b64 v[8:9], v[6:7], off offset:2048 th:TH_LOAD_NT
	global_load_b64 v[10:11], v21, s[18:19] scale_offset
	global_load_b32 v4, v[4:5], off offset:1024 th:TH_LOAD_NT
	s_wait_loadcnt 0x1
	v_mul_f64_e32 v[8:9], v[8:9], v[10:11]
	s_wait_loadcnt 0x0
	v_subrev_nc_u32_e32 v10, s24, v4
.LBB16_42:
	s_wait_xcnt 0x0
	s_or_b32 exec_lo, exec_lo, s10
	s_and_saveexec_b32 s9, vcc_lo
	s_cbranch_execz .LBB16_53
; %bb.43:
	v_mov_b32_e32 v4, 0
	s_mov_b32 s10, exec_lo
	ds_load_b32 v11, v4 offset:3068
	s_wait_dscnt 0x0
	v_cmpx_ne_u32_e64 v10, v11
	s_xor_b32 s10, exec_lo, s10
	s_cbranch_execz .LBB16_50
; %bb.44:
	v_cmp_gt_i32_e32 vcc_lo, 0, v11
	s_cbranch_vccnz .LBB16_50
; %bb.45:
	v_mov_b32_e32 v4, 0
	s_mov_b32 s11, exec_lo
	ds_load_b64 v[4:5], v4 offset:2040
	s_wait_dscnt 0x0
	v_mul_f64_e32 v[6:7], v[2:3], v[4:5]
	v_mov_b64_e32 v[4:5], 0x8000000000000000
.LBB16_46:                              ; =>This Inner Loop Header: Depth=1
	s_ctz_i32_b32 s14, s11
	s_delay_alu instid0(VALU_DEP_2) | instid1(SALU_CYCLE_1)
	v_readlane_b32 s13, v7, s14
	s_delay_alu instid0(VALU_DEP_3) | instskip(NEXT) | instid1(VALU_DEP_1)
	v_readlane_b32 s12, v6, s14
	v_add_f64_e32 v[4:5], s[12:13], v[4:5]
	s_lshl_b32 s12, 1, s14
	s_delay_alu instid0(SALU_CYCLE_1) | instskip(NEXT) | instid1(SALU_CYCLE_1)
	s_and_not1_b32 s11, s11, s12
	s_cmp_lg_u32 s11, 0
	s_cbranch_scc1 .LBB16_46
; %bb.47:
	v_mbcnt_lo_u32_b32 v6, exec_lo, 0
	s_mov_b32 s11, exec_lo
	s_delay_alu instid0(VALU_DEP_1)
	v_cmpx_eq_u32_e32 0, v6
	s_xor_b32 s11, exec_lo, s11
	s_cbranch_execz .LBB16_49
; %bb.48:
	s_wait_kmcnt 0x0
	global_atomic_add_f64 v11, v[4:5], s[16:17] scale_offset scope:SCOPE_DEV
.LBB16_49:
	s_wait_xcnt 0x0
	s_or_b32 exec_lo, exec_lo, s11
.LBB16_50:
	s_and_not1_saveexec_b32 s10, s10
	s_cbranch_execz .LBB16_52
; %bb.51:
	v_mov_b32_e32 v4, 0
	ds_load_b64 v[4:5], v4 offset:2040
	s_wait_dscnt 0x0
	v_add_f64_e32 v[8:9], v[8:9], v[4:5]
.LBB16_52:
	s_or_b32 exec_lo, exec_lo, s10
.LBB16_53:
	s_delay_alu instid0(SALU_CYCLE_1)
	s_or_b32 exec_lo, exec_lo, s9
	s_wait_storecnt 0x0
	s_barrier_signal -1
	s_barrier_wait -1
	ds_store_b32 v1, v10
	ds_store_b64 v12, v[8:9]
	s_wait_dscnt 0x0
	s_barrier_signal -1
	s_barrier_wait -1
	s_and_saveexec_b32 s9, s2
	s_cbranch_execz .LBB16_57
; %bb.54:
	ds_load_b32 v4, v13
	s_mov_b32 s2, exec_lo
	s_wait_dscnt 0x0
	v_cmpx_eq_u32_e64 v10, v4
	s_cbranch_execz .LBB16_56
; %bb.55:
	v_add_nc_u32_e32 v4, -8, v12
	ds_load_b64 v[4:5], v4
	s_wait_dscnt 0x0
	v_add_f64_e32 v[8:9], v[8:9], v[4:5]
.LBB16_56:
	s_or_b32 exec_lo, exec_lo, s2
.LBB16_57:
	s_delay_alu instid0(SALU_CYCLE_1)
	s_or_b32 exec_lo, exec_lo, s9
	s_barrier_signal -1
	s_barrier_wait -1
	ds_store_b64 v12, v[8:9]
	s_wait_dscnt 0x0
	s_barrier_signal -1
	s_barrier_wait -1
	s_and_saveexec_b32 s2, s3
	s_cbranch_execz .LBB16_61
; %bb.58:
	ds_load_b32 v4, v14
	s_mov_b32 s3, exec_lo
	s_wait_dscnt 0x0
	v_cmpx_eq_u32_e64 v10, v4
	s_cbranch_execz .LBB16_60
; %bb.59:
	v_add_nc_u32_e32 v4, -16, v12
	ds_load_b64 v[4:5], v4
	s_wait_dscnt 0x0
	v_add_f64_e32 v[8:9], v[8:9], v[4:5]
.LBB16_60:
	s_or_b32 exec_lo, exec_lo, s3
.LBB16_61:
	s_delay_alu instid0(SALU_CYCLE_1)
	s_or_b32 exec_lo, exec_lo, s2
	s_barrier_signal -1
	s_barrier_wait -1
	ds_store_b64 v12, v[8:9]
	s_wait_dscnt 0x0
	s_barrier_signal -1
	s_barrier_wait -1
	s_and_saveexec_b32 s2, s4
	s_cbranch_execz .LBB16_65
; %bb.62:
	ds_load_b32 v4, v15
	s_mov_b32 s3, exec_lo
	s_wait_dscnt 0x0
	v_cmpx_eq_u32_e64 v10, v4
	s_cbranch_execz .LBB16_64
; %bb.63:
	v_subrev_nc_u32_e32 v4, 32, v12
	ds_load_b64 v[4:5], v4
	s_wait_dscnt 0x0
	v_add_f64_e32 v[8:9], v[8:9], v[4:5]
.LBB16_64:
	s_or_b32 exec_lo, exec_lo, s3
.LBB16_65:
	s_delay_alu instid0(SALU_CYCLE_1)
	s_or_b32 exec_lo, exec_lo, s2
	s_barrier_signal -1
	s_barrier_wait -1
	ds_store_b64 v12, v[8:9]
	s_wait_dscnt 0x0
	s_barrier_signal -1
	s_barrier_wait -1
	s_and_saveexec_b32 s2, s5
	s_cbranch_execz .LBB16_69
; %bb.66:
	ds_load_b32 v4, v16
	s_mov_b32 s3, exec_lo
	s_wait_dscnt 0x0
	v_cmpx_eq_u32_e64 v10, v4
	s_cbranch_execz .LBB16_68
; %bb.67:
	v_subrev_nc_u32_e32 v4, 64, v12
	ds_load_b64 v[4:5], v4
	s_wait_dscnt 0x0
	v_add_f64_e32 v[8:9], v[8:9], v[4:5]
.LBB16_68:
	s_or_b32 exec_lo, exec_lo, s3
.LBB16_69:
	s_delay_alu instid0(SALU_CYCLE_1)
	s_or_b32 exec_lo, exec_lo, s2
	s_barrier_signal -1
	s_barrier_wait -1
	ds_store_b64 v12, v[8:9]
	s_wait_dscnt 0x0
	s_barrier_signal -1
	s_barrier_wait -1
	s_and_saveexec_b32 s2, s6
	s_cbranch_execz .LBB16_73
; %bb.70:
	ds_load_b32 v4, v17
	s_mov_b32 s3, exec_lo
	s_wait_dscnt 0x0
	v_cmpx_eq_u32_e64 v10, v4
	s_cbranch_execz .LBB16_72
; %bb.71:
	v_add_nc_u32_e32 v4, 0xffffff80, v12
	ds_load_b64 v[4:5], v4
	s_wait_dscnt 0x0
	v_add_f64_e32 v[8:9], v[8:9], v[4:5]
.LBB16_72:
	s_or_b32 exec_lo, exec_lo, s3
.LBB16_73:
	s_delay_alu instid0(SALU_CYCLE_1)
	s_or_b32 exec_lo, exec_lo, s2
	s_barrier_signal -1
	s_barrier_wait -1
	ds_store_b64 v12, v[8:9]
	s_wait_dscnt 0x0
	s_barrier_signal -1
	s_barrier_wait -1
	s_and_saveexec_b32 s2, s7
	s_cbranch_execz .LBB16_77
; %bb.74:
	ds_load_b32 v4, v18
	s_mov_b32 s3, exec_lo
	s_wait_dscnt 0x0
	v_cmpx_eq_u32_e64 v10, v4
	s_cbranch_execz .LBB16_76
; %bb.75:
	v_add_nc_u32_e32 v4, 0xffffff00, v12
	ds_load_b64 v[4:5], v4
	s_wait_dscnt 0x0
	v_add_f64_e32 v[8:9], v[8:9], v[4:5]
.LBB16_76:
	s_or_b32 exec_lo, exec_lo, s3
.LBB16_77:
	;; [unrolled: 24-line block ×4, first 2 shown]
	s_delay_alu instid0(SALU_CYCLE_1)
	s_or_b32 exec_lo, exec_lo, s2
	s_barrier_signal -1
	s_barrier_wait -1
	ds_store_b64 v12, v[8:9]
	s_wait_dscnt 0x0
	s_barrier_signal -1
	s_barrier_wait -1
	s_and_saveexec_b32 s2, s1
	s_cbranch_execz .LBB16_88
; %bb.86:
	ds_load_b32 v1, v1 offset:4
	v_cmp_lt_i32_e64 s0, -1, v10
	s_wait_dscnt 0x0
	v_cmp_ne_u32_e32 vcc_lo, v10, v1
	s_and_b32 s0, s0, vcc_lo
	s_delay_alu instid0(SALU_CYCLE_1)
	s_and_b32 exec_lo, exec_lo, s0
	s_cbranch_execz .LBB16_88
; %bb.87:
	v_mul_f64_e32 v[4:5], v[2:3], v[8:9]
	s_wait_kmcnt 0x0
	global_atomic_add_f64 v10, v[4:5], s[16:17] scale_offset scope:SCOPE_DEV
.LBB16_88:
	s_wait_xcnt 0x0
	s_or_b32 exec_lo, exec_lo, s2
	v_cmp_eq_u32_e32 vcc_lo, 0xff, v0
	v_cmp_lt_i32_e64 s0, -1, v10
	s_and_b32 s0, vcc_lo, s0
	s_delay_alu instid0(SALU_CYCLE_1)
	s_and_b32 exec_lo, exec_lo, s0
	s_cbranch_execz .LBB16_90
; %bb.89:
	v_mul_f64_e32 v[0:1], v[2:3], v[8:9]
	s_wait_kmcnt 0x0
	global_atomic_add_f64 v10, v[0:1], s[16:17] scale_offset scope:SCOPE_DEV
.LBB16_90:
	s_endpgm
	.section	.rodata,"a",@progbits
	.p2align	6, 0x0
	.amdhsa_kernel _ZN9rocsparseL19coomvn_atomic_loopsILj256ELj2EiddddEEvlNS_24const_host_device_scalarIT5_EEPKT1_S6_PKT2_PKT3_PT4_21rocsparse_index_base_b
		.amdhsa_group_segment_fixed_size 3072
		.amdhsa_private_segment_fixed_size 0
		.amdhsa_kernarg_size 64
		.amdhsa_user_sgpr_count 2
		.amdhsa_user_sgpr_dispatch_ptr 0
		.amdhsa_user_sgpr_queue_ptr 0
		.amdhsa_user_sgpr_kernarg_segment_ptr 1
		.amdhsa_user_sgpr_dispatch_id 0
		.amdhsa_user_sgpr_kernarg_preload_length 0
		.amdhsa_user_sgpr_kernarg_preload_offset 0
		.amdhsa_user_sgpr_private_segment_size 0
		.amdhsa_wavefront_size32 1
		.amdhsa_uses_dynamic_stack 0
		.amdhsa_enable_private_segment 0
		.amdhsa_system_sgpr_workgroup_id_x 1
		.amdhsa_system_sgpr_workgroup_id_y 0
		.amdhsa_system_sgpr_workgroup_id_z 0
		.amdhsa_system_sgpr_workgroup_info 0
		.amdhsa_system_vgpr_workitem_id 0
		.amdhsa_next_free_vgpr 24
		.amdhsa_next_free_sgpr 26
		.amdhsa_named_barrier_count 0
		.amdhsa_reserve_vcc 1
		.amdhsa_float_round_mode_32 0
		.amdhsa_float_round_mode_16_64 0
		.amdhsa_float_denorm_mode_32 3
		.amdhsa_float_denorm_mode_16_64 3
		.amdhsa_fp16_overflow 0
		.amdhsa_memory_ordered 1
		.amdhsa_forward_progress 1
		.amdhsa_inst_pref_size 21
		.amdhsa_round_robin_scheduling 0
		.amdhsa_exception_fp_ieee_invalid_op 0
		.amdhsa_exception_fp_denorm_src 0
		.amdhsa_exception_fp_ieee_div_zero 0
		.amdhsa_exception_fp_ieee_overflow 0
		.amdhsa_exception_fp_ieee_underflow 0
		.amdhsa_exception_fp_ieee_inexact 0
		.amdhsa_exception_int_div_zero 0
	.end_amdhsa_kernel
	.section	.text._ZN9rocsparseL19coomvn_atomic_loopsILj256ELj2EiddddEEvlNS_24const_host_device_scalarIT5_EEPKT1_S6_PKT2_PKT3_PT4_21rocsparse_index_base_b,"axG",@progbits,_ZN9rocsparseL19coomvn_atomic_loopsILj256ELj2EiddddEEvlNS_24const_host_device_scalarIT5_EEPKT1_S6_PKT2_PKT3_PT4_21rocsparse_index_base_b,comdat
.Lfunc_end16:
	.size	_ZN9rocsparseL19coomvn_atomic_loopsILj256ELj2EiddddEEvlNS_24const_host_device_scalarIT5_EEPKT1_S6_PKT2_PKT3_PT4_21rocsparse_index_base_b, .Lfunc_end16-_ZN9rocsparseL19coomvn_atomic_loopsILj256ELj2EiddddEEvlNS_24const_host_device_scalarIT5_EEPKT1_S6_PKT2_PKT3_PT4_21rocsparse_index_base_b
                                        ; -- End function
	.set _ZN9rocsparseL19coomvn_atomic_loopsILj256ELj2EiddddEEvlNS_24const_host_device_scalarIT5_EEPKT1_S6_PKT2_PKT3_PT4_21rocsparse_index_base_b.num_vgpr, 24
	.set _ZN9rocsparseL19coomvn_atomic_loopsILj256ELj2EiddddEEvlNS_24const_host_device_scalarIT5_EEPKT1_S6_PKT2_PKT3_PT4_21rocsparse_index_base_b.num_agpr, 0
	.set _ZN9rocsparseL19coomvn_atomic_loopsILj256ELj2EiddddEEvlNS_24const_host_device_scalarIT5_EEPKT1_S6_PKT2_PKT3_PT4_21rocsparse_index_base_b.numbered_sgpr, 26
	.set _ZN9rocsparseL19coomvn_atomic_loopsILj256ELj2EiddddEEvlNS_24const_host_device_scalarIT5_EEPKT1_S6_PKT2_PKT3_PT4_21rocsparse_index_base_b.num_named_barrier, 0
	.set _ZN9rocsparseL19coomvn_atomic_loopsILj256ELj2EiddddEEvlNS_24const_host_device_scalarIT5_EEPKT1_S6_PKT2_PKT3_PT4_21rocsparse_index_base_b.private_seg_size, 0
	.set _ZN9rocsparseL19coomvn_atomic_loopsILj256ELj2EiddddEEvlNS_24const_host_device_scalarIT5_EEPKT1_S6_PKT2_PKT3_PT4_21rocsparse_index_base_b.uses_vcc, 1
	.set _ZN9rocsparseL19coomvn_atomic_loopsILj256ELj2EiddddEEvlNS_24const_host_device_scalarIT5_EEPKT1_S6_PKT2_PKT3_PT4_21rocsparse_index_base_b.uses_flat_scratch, 0
	.set _ZN9rocsparseL19coomvn_atomic_loopsILj256ELj2EiddddEEvlNS_24const_host_device_scalarIT5_EEPKT1_S6_PKT2_PKT3_PT4_21rocsparse_index_base_b.has_dyn_sized_stack, 0
	.set _ZN9rocsparseL19coomvn_atomic_loopsILj256ELj2EiddddEEvlNS_24const_host_device_scalarIT5_EEPKT1_S6_PKT2_PKT3_PT4_21rocsparse_index_base_b.has_recursion, 0
	.set _ZN9rocsparseL19coomvn_atomic_loopsILj256ELj2EiddddEEvlNS_24const_host_device_scalarIT5_EEPKT1_S6_PKT2_PKT3_PT4_21rocsparse_index_base_b.has_indirect_call, 0
	.section	.AMDGPU.csdata,"",@progbits
; Kernel info:
; codeLenInByte = 2644
; TotalNumSgprs: 28
; NumVgprs: 24
; ScratchSize: 0
; MemoryBound: 0
; FloatMode: 240
; IeeeMode: 1
; LDSByteSize: 3072 bytes/workgroup (compile time only)
; SGPRBlocks: 0
; VGPRBlocks: 1
; NumSGPRsForWavesPerEU: 28
; NumVGPRsForWavesPerEU: 24
; NamedBarCnt: 0
; Occupancy: 16
; WaveLimiterHint : 1
; COMPUTE_PGM_RSRC2:SCRATCH_EN: 0
; COMPUTE_PGM_RSRC2:USER_SGPR: 2
; COMPUTE_PGM_RSRC2:TRAP_HANDLER: 0
; COMPUTE_PGM_RSRC2:TGID_X_EN: 1
; COMPUTE_PGM_RSRC2:TGID_Y_EN: 0
; COMPUTE_PGM_RSRC2:TGID_Z_EN: 0
; COMPUTE_PGM_RSRC2:TIDIG_COMP_CNT: 0
	.section	.text._ZN9rocsparseL22coomvn_segmented_loopsILj256ElddddEEvlT0_NS_24const_host_device_scalarIT4_EEPKS1_S6_PKT1_PKT2_PT3_PS1_PS3_21rocsparse_index_base_b,"axG",@progbits,_ZN9rocsparseL22coomvn_segmented_loopsILj256ElddddEEvlT0_NS_24const_host_device_scalarIT4_EEPKS1_S6_PKT1_PKT2_PT3_PS1_PS3_21rocsparse_index_base_b,comdat
	.globl	_ZN9rocsparseL22coomvn_segmented_loopsILj256ElddddEEvlT0_NS_24const_host_device_scalarIT4_EEPKS1_S6_PKT1_PKT2_PT3_PS1_PS3_21rocsparse_index_base_b ; -- Begin function _ZN9rocsparseL22coomvn_segmented_loopsILj256ElddddEEvlT0_NS_24const_host_device_scalarIT4_EEPKS1_S6_PKT1_PKT2_PT3_PS1_PS3_21rocsparse_index_base_b
	.p2align	8
	.type	_ZN9rocsparseL22coomvn_segmented_loopsILj256ElddddEEvlT0_NS_24const_host_device_scalarIT4_EEPKS1_S6_PKT1_PKT2_PT3_PS1_PS3_21rocsparse_index_base_b,@function
_ZN9rocsparseL22coomvn_segmented_loopsILj256ElddddEEvlT0_NS_24const_host_device_scalarIT4_EEPKS1_S6_PKT1_PKT2_PT3_PS1_PS3_21rocsparse_index_base_b: ; @_ZN9rocsparseL22coomvn_segmented_loopsILj256ElddddEEvlT0_NS_24const_host_device_scalarIT4_EEPKS1_S6_PKT1_PKT2_PT3_PS1_PS3_21rocsparse_index_base_b
; %bb.0:
	s_clause 0x1
	s_load_b64 s[14:15], s[0:1], 0x50
	s_load_b64 s[2:3], s[0:1], 0x10
	s_wait_kmcnt 0x0
	s_bitcmp1_b32 s15, 0
	v_mov_b64_e32 v[2:3], s[2:3]
	s_cselect_b32 s4, -1, 0
	s_delay_alu instid0(SALU_CYCLE_1)
	s_and_b32 vcc_lo, exec_lo, s4
	s_cbranch_vccnz .LBB17_2
; %bb.1:
	v_mov_b32_e32 v1, 0
	flat_load_b64 v[2:3], v1, s[2:3]
.LBB17_2:
	s_wait_xcnt 0x0
	s_mov_b32 s2, exec_lo
	s_wait_loadcnt_dscnt 0x0
	v_cmpx_neq_f64_e32 0, v[2:3]
	s_cbranch_execz .LBB17_89
; %bb.3:
	s_load_b128 s[24:27], s[0:1], 0x0
	s_bfe_u32 s2, ttmp6, 0x4000c
	s_load_b256 s[16:23], s[0:1], 0x18
	s_add_co_i32 s2, s2, 1
	s_and_b32 s3, ttmp6, 15
	s_mul_i32 s2, ttmp9, s2
	s_getreg_b32 s4, hwreg(HW_REG_IB_STS2, 6, 4)
	s_add_co_i32 s3, s3, s2
	s_cmp_eq_u32 s4, 0
	s_mov_b32 s29, 0
	s_cselect_b32 s28, ttmp9, s3
	v_mov_b64_e32 v[6:7], 0
	v_mov_b64_e32 v[4:5], -1
	s_wait_kmcnt 0x0
	s_mul_u64 s[34:35], s[28:29], s[26:27]
	s_delay_alu instid0(SALU_CYCLE_1) | instskip(NEXT) | instid1(SALU_CYCLE_1)
	s_lshl_b64 s[2:3], s[34:35], 8
	v_dual_mov_b32 v9, s3 :: v_dual_bitop2_b32 v8, s2, v0 bitop3:0x54
	s_mov_b32 s2, exec_lo
	s_delay_alu instid0(VALU_DEP_1)
	v_cmpx_gt_i64_e64 s[24:25], v[8:9]
	s_cbranch_execz .LBB17_5
; %bb.4:
	v_lshlrev_b64_e32 v[6:7], 3, v[8:9]
	s_mov_b32 s15, s29
	s_delay_alu instid0(VALU_DEP_1)
	v_add_nc_u64_e32 v[4:5], s[16:17], v[6:7]
	v_add_nc_u64_e32 v[10:11], s[18:19], v[6:7]
	;; [unrolled: 1-line block ×3, first 2 shown]
	global_load_b64 v[12:13], v[4:5], off th:TH_LOAD_NT
	global_load_b64 v[14:15], v[10:11], off th:TH_LOAD_NT
	s_wait_loadcnt 0x1
	s_wait_xcnt 0x1
	v_sub_nc_u64_e64 v[4:5], v[12:13], s[14:15]
	s_wait_loadcnt 0x0
	v_lshl_add_u64 v[10:11], v[14:15], 3, s[22:23]
	s_ashr_i32 s15, s14, 31
	s_delay_alu instid0(SALU_CYCLE_1)
	s_lshl_b64 s[4:5], s[14:15], 3
	s_delay_alu instid0(VALU_DEP_1) | instid1(SALU_CYCLE_1)
	v_sub_nc_u64_e64 v[10:11], v[10:11], s[4:5]
	global_load_b64 v[12:13], v[6:7], off th:TH_LOAD_NT
	global_load_b64 v[14:15], v[10:11], off
	s_wait_loadcnt 0x0
	v_mul_f64_e32 v[6:7], v[12:13], v[14:15]
.LBB17_5:
	s_or_b32 exec_lo, exec_lo, s2
	v_lshlrev_b32_e32 v1, 3, v0
	v_cmp_eq_u32_e64 s2, 0, v0
	v_cmp_ne_u32_e64 s3, 0, v0
	s_delay_alu instid0(VALU_DEP_3)
	v_or_b32_e32 v18, 0x800, v1
	v_add_nc_u32_e32 v19, -8, v1
	ds_store_2addr_stride64_b64 v1, v[4:5], v[6:7] offset1:4
	s_wait_dscnt 0x0
	s_barrier_signal -1
	s_barrier_wait -1
	s_and_saveexec_b32 s4, s3
	s_cbranch_execz .LBB17_9
; %bb.6:
	ds_load_b64 v[10:11], v19
	s_mov_b32 s5, exec_lo
	s_wait_dscnt 0x0
	v_cmpx_eq_u64_e64 v[4:5], v[10:11]
	s_cbranch_execz .LBB17_8
; %bb.7:
	v_add_nc_u32_e32 v10, -8, v18
	ds_load_b64 v[10:11], v10
	s_wait_dscnt 0x0
	v_add_f64_e32 v[6:7], v[6:7], v[10:11]
.LBB17_8:
	s_or_b32 exec_lo, exec_lo, s5
.LBB17_9:
	s_delay_alu instid0(SALU_CYCLE_1)
	s_or_b32 exec_lo, exec_lo, s4
	v_cmp_lt_u32_e64 s4, 1, v0
	v_add_nc_u32_e32 v20, -16, v1
	s_barrier_signal -1
	s_barrier_wait -1
	ds_store_b64 v18, v[6:7]
	s_wait_dscnt 0x0
	s_barrier_signal -1
	s_barrier_wait -1
	s_and_saveexec_b32 s5, s4
	s_cbranch_execz .LBB17_13
; %bb.10:
	ds_load_b64 v[10:11], v20
	s_mov_b32 s6, exec_lo
	s_wait_dscnt 0x0
	v_cmpx_eq_u64_e64 v[4:5], v[10:11]
	s_cbranch_execz .LBB17_12
; %bb.11:
	v_add_nc_u32_e32 v10, -16, v18
	ds_load_b64 v[10:11], v10
	s_wait_dscnt 0x0
	v_add_f64_e32 v[6:7], v[6:7], v[10:11]
.LBB17_12:
	s_or_b32 exec_lo, exec_lo, s6
.LBB17_13:
	s_delay_alu instid0(SALU_CYCLE_1)
	s_or_b32 exec_lo, exec_lo, s5
	v_cmp_lt_u32_e64 s5, 3, v0
	v_subrev_nc_u32_e32 v21, 32, v1
	s_barrier_signal -1
	s_barrier_wait -1
	ds_store_b64 v18, v[6:7]
	s_wait_dscnt 0x0
	s_barrier_signal -1
	s_barrier_wait -1
	s_and_saveexec_b32 s6, s5
	s_cbranch_execz .LBB17_17
; %bb.14:
	ds_load_b64 v[10:11], v21
	s_mov_b32 s7, exec_lo
	s_wait_dscnt 0x0
	v_cmpx_eq_u64_e64 v[4:5], v[10:11]
	s_cbranch_execz .LBB17_16
; %bb.15:
	v_subrev_nc_u32_e32 v10, 32, v18
	ds_load_b64 v[10:11], v10
	s_wait_dscnt 0x0
	v_add_f64_e32 v[6:7], v[6:7], v[10:11]
.LBB17_16:
	s_or_b32 exec_lo, exec_lo, s7
.LBB17_17:
	s_delay_alu instid0(SALU_CYCLE_1)
	s_or_b32 exec_lo, exec_lo, s6
	v_cmp_lt_u32_e64 s6, 7, v0
	v_subrev_nc_u32_e32 v22, 64, v1
	s_barrier_signal -1
	s_barrier_wait -1
	ds_store_b64 v18, v[6:7]
	s_wait_dscnt 0x0
	s_barrier_signal -1
	s_barrier_wait -1
	s_and_saveexec_b32 s7, s6
	s_cbranch_execz .LBB17_21
; %bb.18:
	ds_load_b64 v[10:11], v22
	s_mov_b32 s8, exec_lo
	s_wait_dscnt 0x0
	v_cmpx_eq_u64_e64 v[4:5], v[10:11]
	s_cbranch_execz .LBB17_20
; %bb.19:
	v_subrev_nc_u32_e32 v10, 64, v18
	ds_load_b64 v[10:11], v10
	s_wait_dscnt 0x0
	v_add_f64_e32 v[6:7], v[6:7], v[10:11]
.LBB17_20:
	s_or_b32 exec_lo, exec_lo, s8
.LBB17_21:
	s_delay_alu instid0(SALU_CYCLE_1)
	s_or_b32 exec_lo, exec_lo, s7
	v_cmp_lt_u32_e64 s7, 15, v0
	v_add_nc_u32_e32 v23, 0xffffff80, v1
	s_barrier_signal -1
	s_barrier_wait -1
	ds_store_b64 v18, v[6:7]
	s_wait_dscnt 0x0
	s_barrier_signal -1
	s_barrier_wait -1
	s_and_saveexec_b32 s8, s7
	s_cbranch_execz .LBB17_25
; %bb.22:
	ds_load_b64 v[10:11], v23
	s_mov_b32 s9, exec_lo
	s_wait_dscnt 0x0
	v_cmpx_eq_u64_e64 v[4:5], v[10:11]
	s_cbranch_execz .LBB17_24
; %bb.23:
	v_add_nc_u32_e32 v10, 0xffffff80, v18
	ds_load_b64 v[10:11], v10
	s_wait_dscnt 0x0
	v_add_f64_e32 v[6:7], v[6:7], v[10:11]
.LBB17_24:
	s_or_b32 exec_lo, exec_lo, s9
.LBB17_25:
	s_delay_alu instid0(SALU_CYCLE_1)
	s_or_b32 exec_lo, exec_lo, s8
	v_cmp_lt_u32_e64 s8, 31, v0
	v_add_nc_u32_e32 v24, 0xffffff00, v1
	s_barrier_signal -1
	s_barrier_wait -1
	ds_store_b64 v18, v[6:7]
	s_wait_dscnt 0x0
	s_barrier_signal -1
	s_barrier_wait -1
	s_and_saveexec_b32 s9, s8
	s_cbranch_execz .LBB17_29
; %bb.26:
	ds_load_b64 v[10:11], v24
	s_mov_b32 s10, exec_lo
	s_wait_dscnt 0x0
	v_cmpx_eq_u64_e64 v[4:5], v[10:11]
	s_cbranch_execz .LBB17_28
; %bb.27:
	v_add_nc_u32_e32 v10, 0xffffff00, v18
	ds_load_b64 v[10:11], v10
	s_wait_dscnt 0x0
	v_add_f64_e32 v[6:7], v[6:7], v[10:11]
.LBB17_28:
	s_or_b32 exec_lo, exec_lo, s10
.LBB17_29:
	s_delay_alu instid0(SALU_CYCLE_1)
	s_or_b32 exec_lo, exec_lo, s9
	v_cmp_lt_u32_e64 s9, 63, v0
	v_add_nc_u32_e32 v25, 0xfffffe00, v1
	s_barrier_signal -1
	s_barrier_wait -1
	ds_store_b64 v18, v[6:7]
	s_wait_dscnt 0x0
	s_barrier_signal -1
	s_barrier_wait -1
	s_and_saveexec_b32 s10, s9
	s_cbranch_execz .LBB17_33
; %bb.30:
	ds_load_b64 v[10:11], v25
	s_mov_b32 s11, exec_lo
	s_wait_dscnt 0x0
	v_cmpx_eq_u64_e64 v[4:5], v[10:11]
	s_cbranch_execz .LBB17_32
; %bb.31:
	v_add_nc_u32_e32 v10, 0xfffffe00, v18
	ds_load_b64 v[10:11], v10
	s_wait_dscnt 0x0
	v_add_f64_e32 v[6:7], v[6:7], v[10:11]
.LBB17_32:
	s_or_b32 exec_lo, exec_lo, s11
.LBB17_33:
	s_delay_alu instid0(SALU_CYCLE_1)
	s_or_b32 exec_lo, exec_lo, s10
	v_cmp_lt_u32_e64 s10, 0x7f, v0
	v_add_nc_u32_e32 v26, 0xfffffc00, v1
	s_barrier_signal -1
	s_barrier_wait -1
	ds_store_b64 v18, v[6:7]
	s_wait_dscnt 0x0
	s_barrier_signal -1
	s_barrier_wait -1
	s_and_saveexec_b32 s11, s10
	s_cbranch_execz .LBB17_37
; %bb.34:
	ds_load_b64 v[10:11], v26
	s_mov_b32 s12, exec_lo
	s_wait_dscnt 0x0
	v_cmpx_eq_u64_e64 v[4:5], v[10:11]
	s_cbranch_execz .LBB17_36
; %bb.35:
	v_add_nc_u32_e32 v10, 0xfffffc00, v18
	ds_load_b64 v[10:11], v10
	s_wait_dscnt 0x0
	v_add_f64_e32 v[6:7], v[6:7], v[10:11]
.LBB17_36:
	s_or_b32 exec_lo, exec_lo, s12
.LBB17_37:
	s_delay_alu instid0(SALU_CYCLE_1)
	s_or_b32 exec_lo, exec_lo, s11
	s_load_b64 s[30:31], s[0:1], 0x38
	v_cmp_gt_u32_e64 s11, 0xff, v0
	s_barrier_signal -1
	s_barrier_wait -1
	ds_store_b64 v18, v[6:7]
	s_wait_dscnt 0x0
	s_barrier_signal -1
	s_barrier_wait -1
	s_and_saveexec_b32 s13, s11
	s_cbranch_execz .LBB17_40
; %bb.38:
	ds_load_b64 v[10:11], v1 offset:8
	v_cmp_lt_i64_e64 s12, -1, v[4:5]
	s_wait_dscnt 0x0
	v_cmp_ne_u64_e32 vcc_lo, v[4:5], v[10:11]
	s_and_b32 s12, s12, vcc_lo
	s_delay_alu instid0(SALU_CYCLE_1)
	s_and_b32 exec_lo, exec_lo, s12
	s_cbranch_execz .LBB17_40
; %bb.39:
	s_wait_kmcnt 0x0
	v_lshl_add_u64 v[10:11], v[4:5], 3, s[30:31]
	global_load_b64 v[12:13], v[10:11], off
	s_wait_loadcnt 0x0
	v_fmac_f64_e32 v[12:13], v[2:3], v[6:7]
	global_store_b64 v[10:11], v[12:13], off
.LBB17_40:
	s_wait_xcnt 0x0
	s_or_b32 exec_lo, exec_lo, s13
	v_cmp_lt_i64_e64 s12, s[26:27], 2
	s_and_b32 vcc_lo, exec_lo, s12
	s_cbranch_vccnz .LBB17_87
; %bb.41:
	s_lshl_b64 s[12:13], s[34:35], 11
	v_add_nc_u64_e32 v[8:9], 0x100, v[8:9]
	v_lshl_or_b32 v4, v0, 3, s12
	v_dual_mov_b32 v5, s13 :: v_dual_add_nc_u32 v27, -8, v18
	s_ashr_i32 s35, s14, 31
	s_mov_b32 s34, s14
	v_dual_mov_b32 v35, 0 :: v_dual_add_nc_u32 v28, -16, v18
	s_delay_alu instid0(VALU_DEP_2)
	v_add_nc_u64_e32 v[4:5], 0x800, v[4:5]
	v_subrev_nc_u32_e32 v29, 32, v18
	v_subrev_nc_u32_e32 v30, 64, v18
	v_add_nc_u32_e32 v31, 0xffffff80, v18
	v_add_nc_u32_e32 v32, 0xffffff00, v18
	;; [unrolled: 1-line block ×4, first 2 shown]
	v_add_nc_u64_e32 v[10:11], s[18:19], v[4:5]
	v_add_nc_u64_e32 v[12:13], s[20:21], v[4:5]
	;; [unrolled: 1-line block ×3, first 2 shown]
	s_lshl_b64 s[12:13], s[34:35], 3
	s_add_nc_u64 s[26:27], s[26:27], -1
	s_mov_b32 s15, 0
	s_sub_nc_u64 s[16:17], s[22:23], s[12:13]
	s_mov_b64 s[18:19], 0
	s_branch .LBB17_43
.LBB17_42:                              ;   in Loop: Header=BB17_43 Depth=1
	s_wait_xcnt 0x0
	s_or_b32 exec_lo, exec_lo, s13
	s_add_nc_u64 s[18:19], s[18:19], 1
	v_add_nc_u64_e32 v[10:11], 0x800, v[10:11]
	v_cmp_le_u64_e64 s12, s[26:27], s[18:19]
	v_add_nc_u64_e32 v[12:13], 0x800, v[12:13]
	v_add_nc_u64_e32 v[14:15], 0x800, v[14:15]
	;; [unrolled: 1-line block ×3, first 2 shown]
	s_and_b32 vcc_lo, exec_lo, s12
	s_cbranch_vccnz .LBB17_87
.LBB17_43:                              ; =>This Inner Loop Header: Depth=1
	v_mov_b64_e32 v[6:7], 0
	v_mov_b64_e32 v[4:5], -1
	s_mov_b32 s12, exec_lo
	s_delay_alu instid0(VALU_DEP_3)
	v_cmpx_gt_i64_e64 s[24:25], v[8:9]
	s_cbranch_execz .LBB17_45
; %bb.44:                               ;   in Loop: Header=BB17_43 Depth=1
	global_load_b64 v[4:5], v[10:11], off th:TH_LOAD_NT
	s_wait_loadcnt 0x0
	v_lshl_add_u64 v[4:5], v[4:5], 3, s[16:17]
	global_load_b64 v[6:7], v[12:13], off th:TH_LOAD_NT
	global_load_b64 v[16:17], v[4:5], off
	global_load_b64 v[36:37], v[14:15], off th:TH_LOAD_NT
	s_wait_loadcnt 0x1
	v_mul_f64_e32 v[6:7], v[6:7], v[16:17]
	s_wait_loadcnt 0x0
	s_wait_xcnt 0x1
	v_sub_nc_u64_e64 v[4:5], v[36:37], s[14:15]
.LBB17_45:                              ;   in Loop: Header=BB17_43 Depth=1
	s_wait_xcnt 0x0
	s_or_b32 exec_lo, exec_lo, s12
	s_and_saveexec_b32 s12, s2
	s_cbranch_execz .LBB17_52
; %bb.46:                               ;   in Loop: Header=BB17_43 Depth=1
	ds_load_b64 v[16:17], v35 offset:2040
	s_mov_b32 s13, exec_lo
	s_wait_dscnt 0x0
	v_cmpx_ne_u64_e64 v[4:5], v[16:17]
	s_xor_b32 s13, exec_lo, s13
	s_cbranch_execz .LBB17_49
; %bb.47:                               ;   in Loop: Header=BB17_43 Depth=1
	v_cmp_gt_i64_e32 vcc_lo, 0, v[16:17]
	s_cbranch_vccnz .LBB17_49
; %bb.48:                               ;   in Loop: Header=BB17_43 Depth=1
	v_lshlrev_b64_e32 v[16:17], 3, v[16:17]
	ds_load_b64 v[38:39], v35 offset:4088
	s_wait_kmcnt 0x0
	v_add_nc_u64_e32 v[16:17], s[30:31], v[16:17]
	global_load_b64 v[36:37], v[16:17], off
	s_wait_loadcnt_dscnt 0x0
	v_fmac_f64_e32 v[36:37], v[2:3], v[38:39]
	global_store_b64 v[16:17], v[36:37], off
.LBB17_49:                              ;   in Loop: Header=BB17_43 Depth=1
	s_wait_xcnt 0x0
	s_and_not1_saveexec_b32 s13, s13
	s_cbranch_execz .LBB17_51
; %bb.50:                               ;   in Loop: Header=BB17_43 Depth=1
	ds_load_b64 v[16:17], v35 offset:4088
	s_wait_dscnt 0x0
	v_add_f64_e32 v[6:7], v[6:7], v[16:17]
.LBB17_51:                              ;   in Loop: Header=BB17_43 Depth=1
	s_or_b32 exec_lo, exec_lo, s13
.LBB17_52:                              ;   in Loop: Header=BB17_43 Depth=1
	s_delay_alu instid0(SALU_CYCLE_1)
	s_or_b32 exec_lo, exec_lo, s12
	s_wait_storecnt 0x0
	s_barrier_signal -1
	s_barrier_wait -1
	ds_store_b64 v1, v[4:5]
	ds_store_b64 v18, v[6:7]
	s_wait_dscnt 0x0
	s_barrier_signal -1
	s_barrier_wait -1
	s_and_saveexec_b32 s12, s3
	s_cbranch_execz .LBB17_56
; %bb.53:                               ;   in Loop: Header=BB17_43 Depth=1
	ds_load_b64 v[16:17], v19
	s_mov_b32 s13, exec_lo
	s_wait_dscnt 0x0
	v_cmpx_eq_u64_e64 v[4:5], v[16:17]
	s_cbranch_execz .LBB17_55
; %bb.54:                               ;   in Loop: Header=BB17_43 Depth=1
	ds_load_b64 v[16:17], v27
	s_wait_dscnt 0x0
	v_add_f64_e32 v[6:7], v[6:7], v[16:17]
.LBB17_55:                              ;   in Loop: Header=BB17_43 Depth=1
	s_or_b32 exec_lo, exec_lo, s13
.LBB17_56:                              ;   in Loop: Header=BB17_43 Depth=1
	s_delay_alu instid0(SALU_CYCLE_1)
	s_or_b32 exec_lo, exec_lo, s12
	s_barrier_signal -1
	s_barrier_wait -1
	ds_store_b64 v18, v[6:7]
	s_wait_dscnt 0x0
	s_barrier_signal -1
	s_barrier_wait -1
	s_and_saveexec_b32 s12, s4
	s_cbranch_execz .LBB17_60
; %bb.57:                               ;   in Loop: Header=BB17_43 Depth=1
	ds_load_b64 v[16:17], v20
	s_mov_b32 s13, exec_lo
	s_wait_dscnt 0x0
	v_cmpx_eq_u64_e64 v[4:5], v[16:17]
	s_cbranch_execz .LBB17_59
; %bb.58:                               ;   in Loop: Header=BB17_43 Depth=1
	ds_load_b64 v[16:17], v28
	s_wait_dscnt 0x0
	v_add_f64_e32 v[6:7], v[6:7], v[16:17]
.LBB17_59:                              ;   in Loop: Header=BB17_43 Depth=1
	s_or_b32 exec_lo, exec_lo, s13
.LBB17_60:                              ;   in Loop: Header=BB17_43 Depth=1
	s_delay_alu instid0(SALU_CYCLE_1)
	s_or_b32 exec_lo, exec_lo, s12
	s_barrier_signal -1
	s_barrier_wait -1
	;; [unrolled: 23-line block ×8, first 2 shown]
	ds_store_b64 v18, v[6:7]
	s_wait_dscnt 0x0
	s_barrier_signal -1
	s_barrier_wait -1
	s_and_saveexec_b32 s13, s11
	s_cbranch_execz .LBB17_42
; %bb.85:                               ;   in Loop: Header=BB17_43 Depth=1
	ds_load_b64 v[16:17], v1 offset:8
	v_cmp_lt_i64_e64 s12, -1, v[4:5]
	s_wait_dscnt 0x0
	v_cmp_ne_u64_e32 vcc_lo, v[4:5], v[16:17]
	s_and_b32 s12, s12, vcc_lo
	s_delay_alu instid0(SALU_CYCLE_1)
	s_and_b32 exec_lo, exec_lo, s12
	s_cbranch_execz .LBB17_42
; %bb.86:                               ;   in Loop: Header=BB17_43 Depth=1
	s_wait_kmcnt 0x0
	v_lshl_add_u64 v[16:17], v[4:5], 3, s[30:31]
	global_load_b64 v[36:37], v[16:17], off
	s_wait_loadcnt 0x0
	v_fmac_f64_e32 v[36:37], v[2:3], v[6:7]
	global_store_b64 v[16:17], v[36:37], off
	s_branch .LBB17_42
.LBB17_87:
	s_load_b128 s[4:7], s[0:1], 0x40
	v_cmp_eq_u32_e32 vcc_lo, 0xff, v0
	s_and_b32 exec_lo, exec_lo, vcc_lo
	s_cbranch_execz .LBB17_89
; %bb.88:
	v_dual_mul_f64 v[0:1], v[2:3], v[6:7] :: v_dual_mov_b32 v2, 0
	s_wait_xcnt 0x0
	s_lshl_b64 s[0:1], s[28:29], 3
	s_wait_kmcnt 0x0
	s_add_nc_u64 s[2:3], s[4:5], s[0:1]
	s_add_nc_u64 s[0:1], s[6:7], s[0:1]
	s_clause 0x1
	global_store_b64 v2, v[4:5], s[2:3] th:TH_STORE_NT
	global_store_b64 v2, v[0:1], s[0:1] th:TH_STORE_NT
.LBB17_89:
	s_endpgm
	.section	.rodata,"a",@progbits
	.p2align	6, 0x0
	.amdhsa_kernel _ZN9rocsparseL22coomvn_segmented_loopsILj256ElddddEEvlT0_NS_24const_host_device_scalarIT4_EEPKS1_S6_PKT1_PKT2_PT3_PS1_PS3_21rocsparse_index_base_b
		.amdhsa_group_segment_fixed_size 4096
		.amdhsa_private_segment_fixed_size 0
		.amdhsa_kernarg_size 88
		.amdhsa_user_sgpr_count 2
		.amdhsa_user_sgpr_dispatch_ptr 0
		.amdhsa_user_sgpr_queue_ptr 0
		.amdhsa_user_sgpr_kernarg_segment_ptr 1
		.amdhsa_user_sgpr_dispatch_id 0
		.amdhsa_user_sgpr_kernarg_preload_length 0
		.amdhsa_user_sgpr_kernarg_preload_offset 0
		.amdhsa_user_sgpr_private_segment_size 0
		.amdhsa_wavefront_size32 1
		.amdhsa_uses_dynamic_stack 0
		.amdhsa_enable_private_segment 0
		.amdhsa_system_sgpr_workgroup_id_x 1
		.amdhsa_system_sgpr_workgroup_id_y 0
		.amdhsa_system_sgpr_workgroup_id_z 0
		.amdhsa_system_sgpr_workgroup_info 0
		.amdhsa_system_vgpr_workitem_id 0
		.amdhsa_next_free_vgpr 40
		.amdhsa_next_free_sgpr 36
		.amdhsa_named_barrier_count 0
		.amdhsa_reserve_vcc 1
		.amdhsa_float_round_mode_32 0
		.amdhsa_float_round_mode_16_64 0
		.amdhsa_float_denorm_mode_32 3
		.amdhsa_float_denorm_mode_16_64 3
		.amdhsa_fp16_overflow 0
		.amdhsa_memory_ordered 1
		.amdhsa_forward_progress 1
		.amdhsa_inst_pref_size 23
		.amdhsa_round_robin_scheduling 0
		.amdhsa_exception_fp_ieee_invalid_op 0
		.amdhsa_exception_fp_denorm_src 0
		.amdhsa_exception_fp_ieee_div_zero 0
		.amdhsa_exception_fp_ieee_overflow 0
		.amdhsa_exception_fp_ieee_underflow 0
		.amdhsa_exception_fp_ieee_inexact 0
		.amdhsa_exception_int_div_zero 0
	.end_amdhsa_kernel
	.section	.text._ZN9rocsparseL22coomvn_segmented_loopsILj256ElddddEEvlT0_NS_24const_host_device_scalarIT4_EEPKS1_S6_PKT1_PKT2_PT3_PS1_PS3_21rocsparse_index_base_b,"axG",@progbits,_ZN9rocsparseL22coomvn_segmented_loopsILj256ElddddEEvlT0_NS_24const_host_device_scalarIT4_EEPKS1_S6_PKT1_PKT2_PT3_PS1_PS3_21rocsparse_index_base_b,comdat
.Lfunc_end17:
	.size	_ZN9rocsparseL22coomvn_segmented_loopsILj256ElddddEEvlT0_NS_24const_host_device_scalarIT4_EEPKS1_S6_PKT1_PKT2_PT3_PS1_PS3_21rocsparse_index_base_b, .Lfunc_end17-_ZN9rocsparseL22coomvn_segmented_loopsILj256ElddddEEvlT0_NS_24const_host_device_scalarIT4_EEPKS1_S6_PKT1_PKT2_PT3_PS1_PS3_21rocsparse_index_base_b
                                        ; -- End function
	.set _ZN9rocsparseL22coomvn_segmented_loopsILj256ElddddEEvlT0_NS_24const_host_device_scalarIT4_EEPKS1_S6_PKT1_PKT2_PT3_PS1_PS3_21rocsparse_index_base_b.num_vgpr, 40
	.set _ZN9rocsparseL22coomvn_segmented_loopsILj256ElddddEEvlT0_NS_24const_host_device_scalarIT4_EEPKS1_S6_PKT1_PKT2_PT3_PS1_PS3_21rocsparse_index_base_b.num_agpr, 0
	.set _ZN9rocsparseL22coomvn_segmented_loopsILj256ElddddEEvlT0_NS_24const_host_device_scalarIT4_EEPKS1_S6_PKT1_PKT2_PT3_PS1_PS3_21rocsparse_index_base_b.numbered_sgpr, 36
	.set _ZN9rocsparseL22coomvn_segmented_loopsILj256ElddddEEvlT0_NS_24const_host_device_scalarIT4_EEPKS1_S6_PKT1_PKT2_PT3_PS1_PS3_21rocsparse_index_base_b.num_named_barrier, 0
	.set _ZN9rocsparseL22coomvn_segmented_loopsILj256ElddddEEvlT0_NS_24const_host_device_scalarIT4_EEPKS1_S6_PKT1_PKT2_PT3_PS1_PS3_21rocsparse_index_base_b.private_seg_size, 0
	.set _ZN9rocsparseL22coomvn_segmented_loopsILj256ElddddEEvlT0_NS_24const_host_device_scalarIT4_EEPKS1_S6_PKT1_PKT2_PT3_PS1_PS3_21rocsparse_index_base_b.uses_vcc, 1
	.set _ZN9rocsparseL22coomvn_segmented_loopsILj256ElddddEEvlT0_NS_24const_host_device_scalarIT4_EEPKS1_S6_PKT1_PKT2_PT3_PS1_PS3_21rocsparse_index_base_b.uses_flat_scratch, 0
	.set _ZN9rocsparseL22coomvn_segmented_loopsILj256ElddddEEvlT0_NS_24const_host_device_scalarIT4_EEPKS1_S6_PKT1_PKT2_PT3_PS1_PS3_21rocsparse_index_base_b.has_dyn_sized_stack, 0
	.set _ZN9rocsparseL22coomvn_segmented_loopsILj256ElddddEEvlT0_NS_24const_host_device_scalarIT4_EEPKS1_S6_PKT1_PKT2_PT3_PS1_PS3_21rocsparse_index_base_b.has_recursion, 0
	.set _ZN9rocsparseL22coomvn_segmented_loopsILj256ElddddEEvlT0_NS_24const_host_device_scalarIT4_EEPKS1_S6_PKT1_PKT2_PT3_PS1_PS3_21rocsparse_index_base_b.has_indirect_call, 0
	.section	.AMDGPU.csdata,"",@progbits
; Kernel info:
; codeLenInByte = 2828
; TotalNumSgprs: 38
; NumVgprs: 40
; ScratchSize: 0
; MemoryBound: 1
; FloatMode: 240
; IeeeMode: 1
; LDSByteSize: 4096 bytes/workgroup (compile time only)
; SGPRBlocks: 0
; VGPRBlocks: 2
; NumSGPRsForWavesPerEU: 38
; NumVGPRsForWavesPerEU: 40
; NamedBarCnt: 0
; Occupancy: 16
; WaveLimiterHint : 1
; COMPUTE_PGM_RSRC2:SCRATCH_EN: 0
; COMPUTE_PGM_RSRC2:USER_SGPR: 2
; COMPUTE_PGM_RSRC2:TRAP_HANDLER: 0
; COMPUTE_PGM_RSRC2:TGID_X_EN: 1
; COMPUTE_PGM_RSRC2:TGID_Y_EN: 0
; COMPUTE_PGM_RSRC2:TGID_Z_EN: 0
; COMPUTE_PGM_RSRC2:TIDIG_COMP_CNT: 0
	.section	.text._ZN9rocsparseL29coomvn_segmented_loops_reduceILj256ElddEEvT0_NS_24const_host_device_scalarIT2_EEPKS1_PKS3_PT1_b,"axG",@progbits,_ZN9rocsparseL29coomvn_segmented_loops_reduceILj256ElddEEvT0_NS_24const_host_device_scalarIT2_EEPKS1_PKS3_PT1_b,comdat
	.globl	_ZN9rocsparseL29coomvn_segmented_loops_reduceILj256ElddEEvT0_NS_24const_host_device_scalarIT2_EEPKS1_PKS3_PT1_b ; -- Begin function _ZN9rocsparseL29coomvn_segmented_loops_reduceILj256ElddEEvT0_NS_24const_host_device_scalarIT2_EEPKS1_PKS3_PT1_b
	.p2align	8
	.type	_ZN9rocsparseL29coomvn_segmented_loops_reduceILj256ElddEEvT0_NS_24const_host_device_scalarIT2_EEPKS1_PKS3_PT1_b,@function
_ZN9rocsparseL29coomvn_segmented_loops_reduceILj256ElddEEvT0_NS_24const_host_device_scalarIT2_EEPKS1_PKS3_PT1_b: ; @_ZN9rocsparseL29coomvn_segmented_loops_reduceILj256ElddEEvT0_NS_24const_host_device_scalarIT2_EEPKS1_PKS3_PT1_b
; %bb.0:
	s_clause 0x1
	s_load_b32 s2, s[0:1], 0x28
	s_load_b128 s[4:7], s[0:1], 0x0
	s_wait_kmcnt 0x0
	s_bitcmp1_b32 s2, 0
	v_mov_b64_e32 v[2:3], s[6:7]
	s_cselect_b32 s2, -1, 0
	s_delay_alu instid0(SALU_CYCLE_1)
	s_and_b32 vcc_lo, exec_lo, s2
	s_cbranch_vccnz .LBB18_2
; %bb.1:
	v_mov_b32_e32 v1, 0
	flat_load_b64 v[2:3], v1, s[6:7]
.LBB18_2:
	s_mov_b32 s2, exec_lo
	s_wait_loadcnt_dscnt 0x0
	s_delay_alu instid0(VALU_DEP_1)
	v_cmpx_neq_f64_e32 0, v[2:3]
	s_cbranch_execz .LBB18_44
; %bb.3:
	v_cmp_lt_i64_e64 s2, s[4:5], 1
	s_and_b32 vcc_lo, exec_lo, s2
	s_cbranch_vccnz .LBB18_44
; %bb.4:
	s_clause 0x1
	s_load_b128 s[8:11], s[0:1], 0x10
	s_load_b64 s[2:3], s[0:1], 0x20
	s_wait_xcnt 0x0
	v_sub_co_u32 v3, s0, v0, 1
	s_xor_b32 s12, s0, -1
	v_sub_co_u32 v4, s0, v0, 2
	v_lshl_add_u32 v16, v3, 3, 0x800
	s_xor_b32 s13, s0, -1
	v_sub_co_u32 v3, s0, v0, 4
	s_delay_alu instid0(VALU_DEP_3) | instskip(SKIP_2) | instid1(VALU_DEP_3)
	v_lshl_add_u32 v18, v4, 3, 0x800
	s_xor_b32 s14, s0, -1
	v_sub_co_u32 v4, s0, v0, 8
	v_lshl_add_u32 v20, v3, 3, 0x800
	s_xor_b32 s15, s0, -1
	v_sub_co_u32 v3, s0, v0, 16
	v_dual_mov_b32 v1, 0 :: v_dual_lshlrev_b32 v2, 3, v0
	v_lshl_add_u32 v22, v4, 3, 0x800
	s_xor_b32 s16, s0, -1
	v_sub_co_u32 v4, s0, v0, 32
	v_lshl_add_u32 v24, v3, 3, 0x800
	v_mov_b32_e32 v3, v1
	v_subrev_co_u32 v8, s6, 0x80, v0
	s_delay_alu instid0(VALU_DEP_4)
	v_lshl_add_u32 v26, v4, 3, 0x800
	v_sub_co_u32 v4, s1, v0, 64
	s_wait_kmcnt 0x0
	v_add_nc_u64_e32 v[6:7], s[8:9], v[2:3]
	v_or_b32_e32 v14, 0x800, v2
	v_dual_add_nc_u32 v15, -8, v2 :: v_dual_add_nc_u32 v17, -16, v2
	v_lshl_add_u32 v28, v4, 3, 0x800
	v_add_nc_u64_e32 v[4:5], s[10:11], v[2:3]
	v_subrev_nc_u32_e32 v19, 32, v2
	v_subrev_nc_u32_e32 v21, 64, v2
	v_add_nc_u32_e32 v23, 0xffffff80, v2
	s_xor_b32 s17, s0, -1
	v_add_nc_u32_e32 v25, 0xffffff00, v2
	v_add_nc_u32_e32 v27, 0xfffffe00, v2
	;; [unrolled: 1-line block ×3, first 2 shown]
	v_lshl_add_u32 v3, v8, 3, 0x800
	v_cmp_gt_u32_e64 s0, 0xff, v0
	s_xor_b32 s8, s1, -1
	s_xor_b32 s9, s6, -1
	s_mov_b64 s[6:7], 0
	s_branch .LBB18_6
.LBB18_5:                               ;   in Loop: Header=BB18_6 Depth=1
	s_wait_xcnt 0x0
	s_or_b32 exec_lo, exec_lo, s1
	s_add_nc_u64 s[6:7], s[6:7], 0x100
	v_add_nc_u64_e32 v[4:5], 0x800, v[4:5]
	v_cmp_lt_i64_e64 s1, s[6:7], s[4:5]
	v_add_nc_u64_e32 v[6:7], 0x800, v[6:7]
	s_wait_storecnt 0x0
	s_barrier_signal -1
	s_barrier_wait -1
	s_and_b32 vcc_lo, exec_lo, s1
	s_cbranch_vccz .LBB18_44
.LBB18_6:                               ; =>This Inner Loop Header: Depth=1
	v_add_nc_u64_e32 v[12:13], s[6:7], v[0:1]
	v_mov_b64_e32 v[8:9], 0
	v_mov_b64_e32 v[10:11], -1
	s_delay_alu instid0(VALU_DEP_3)
	v_cmp_gt_i64_e32 vcc_lo, s[4:5], v[12:13]
	v_mov_b64_e32 v[12:13], 0
	s_and_saveexec_b32 s1, vcc_lo
	s_cbranch_execz .LBB18_8
; %bb.7:                                ;   in Loop: Header=BB18_6 Depth=1
	global_load_b64 v[10:11], v[6:7], off
	global_load_b64 v[12:13], v[4:5], off
.LBB18_8:                               ;   in Loop: Header=BB18_6 Depth=1
	s_wait_xcnt 0x0
	s_or_b32 exec_lo, exec_lo, s1
	s_wait_loadcnt 0x1
	ds_store_b64 v2, v[10:11]
	s_wait_loadcnt 0x0
	ds_store_b64 v14, v[12:13]
	s_wait_dscnt 0x0
	s_barrier_signal -1
	s_barrier_wait -1
	s_and_saveexec_b32 s1, s12
	s_cbranch_execz .LBB18_12
; %bb.9:                                ;   in Loop: Header=BB18_6 Depth=1
	ds_load_2addr_b64 v[8:11], v15 offset1:1
	s_wait_dscnt 0x0
	v_cmp_eq_u64_e32 vcc_lo, v[10:11], v[8:9]
	v_mov_b64_e32 v[8:9], 0
	s_and_saveexec_b32 s10, vcc_lo
; %bb.10:                               ;   in Loop: Header=BB18_6 Depth=1
	ds_load_b64 v[8:9], v16
; %bb.11:                               ;   in Loop: Header=BB18_6 Depth=1
	s_or_b32 exec_lo, exec_lo, s10
.LBB18_12:                              ;   in Loop: Header=BB18_6 Depth=1
	s_delay_alu instid0(SALU_CYCLE_1)
	s_or_b32 exec_lo, exec_lo, s1
	s_wait_dscnt 0x0
	s_barrier_signal -1
	s_barrier_wait -1
	ds_load_b64 v[10:11], v14
	s_wait_dscnt 0x0
	v_add_f64_e32 v[12:13], v[8:9], v[10:11]
	v_mov_b64_e32 v[8:9], 0
	v_mov_b64_e32 v[10:11], 0
	ds_store_b64 v14, v[12:13]
	s_wait_dscnt 0x0
	s_barrier_signal -1
	s_barrier_wait -1
	s_and_saveexec_b32 s1, s13
	s_cbranch_execz .LBB18_16
; %bb.13:                               ;   in Loop: Header=BB18_6 Depth=1
	ds_load_b64 v[10:11], v2
	ds_load_b64 v[12:13], v17
	s_wait_dscnt 0x0
	v_cmp_eq_u64_e32 vcc_lo, v[10:11], v[12:13]
	v_mov_b64_e32 v[10:11], 0
	s_and_saveexec_b32 s10, vcc_lo
; %bb.14:                               ;   in Loop: Header=BB18_6 Depth=1
	ds_load_b64 v[10:11], v18
; %bb.15:                               ;   in Loop: Header=BB18_6 Depth=1
	s_or_b32 exec_lo, exec_lo, s10
.LBB18_16:                              ;   in Loop: Header=BB18_6 Depth=1
	s_delay_alu instid0(SALU_CYCLE_1)
	s_or_b32 exec_lo, exec_lo, s1
	s_wait_dscnt 0x0
	s_barrier_signal -1
	s_barrier_wait -1
	ds_load_b64 v[12:13], v14
	s_wait_dscnt 0x0
	v_add_f64_e32 v[10:11], v[10:11], v[12:13]
	ds_store_b64 v14, v[10:11]
	s_wait_dscnt 0x0
	s_barrier_signal -1
	s_barrier_wait -1
	s_and_saveexec_b32 s1, s14
	s_cbranch_execz .LBB18_20
; %bb.17:                               ;   in Loop: Header=BB18_6 Depth=1
	ds_load_b64 v[8:9], v2
	ds_load_b64 v[10:11], v19
	s_wait_dscnt 0x0
	v_cmp_eq_u64_e32 vcc_lo, v[8:9], v[10:11]
	v_mov_b64_e32 v[8:9], 0
	s_and_saveexec_b32 s10, vcc_lo
; %bb.18:                               ;   in Loop: Header=BB18_6 Depth=1
	ds_load_b64 v[8:9], v20
; %bb.19:                               ;   in Loop: Header=BB18_6 Depth=1
	s_or_b32 exec_lo, exec_lo, s10
.LBB18_20:                              ;   in Loop: Header=BB18_6 Depth=1
	s_delay_alu instid0(SALU_CYCLE_1)
	s_or_b32 exec_lo, exec_lo, s1
	s_wait_dscnt 0x0
	s_barrier_signal -1
	s_barrier_wait -1
	ds_load_b64 v[10:11], v14
	s_wait_dscnt 0x0
	v_add_f64_e32 v[12:13], v[8:9], v[10:11]
	v_mov_b64_e32 v[8:9], 0
	v_mov_b64_e32 v[10:11], 0
	ds_store_b64 v14, v[12:13]
	s_wait_dscnt 0x0
	s_barrier_signal -1
	s_barrier_wait -1
	s_and_saveexec_b32 s1, s15
	s_cbranch_execz .LBB18_24
; %bb.21:                               ;   in Loop: Header=BB18_6 Depth=1
	ds_load_b64 v[10:11], v2
	ds_load_b64 v[12:13], v21
	s_wait_dscnt 0x0
	v_cmp_eq_u64_e32 vcc_lo, v[10:11], v[12:13]
	v_mov_b64_e32 v[10:11], 0
	s_and_saveexec_b32 s10, vcc_lo
; %bb.22:                               ;   in Loop: Header=BB18_6 Depth=1
	ds_load_b64 v[10:11], v22
; %bb.23:                               ;   in Loop: Header=BB18_6 Depth=1
	s_or_b32 exec_lo, exec_lo, s10
.LBB18_24:                              ;   in Loop: Header=BB18_6 Depth=1
	s_delay_alu instid0(SALU_CYCLE_1)
	s_or_b32 exec_lo, exec_lo, s1
	s_wait_dscnt 0x0
	s_barrier_signal -1
	s_barrier_wait -1
	ds_load_b64 v[12:13], v14
	s_wait_dscnt 0x0
	v_add_f64_e32 v[10:11], v[10:11], v[12:13]
	ds_store_b64 v14, v[10:11]
	s_wait_dscnt 0x0
	s_barrier_signal -1
	s_barrier_wait -1
	s_and_saveexec_b32 s1, s16
	s_cbranch_execz .LBB18_28
; %bb.25:                               ;   in Loop: Header=BB18_6 Depth=1
	ds_load_b64 v[8:9], v2
	ds_load_b64 v[10:11], v23
	s_wait_dscnt 0x0
	v_cmp_eq_u64_e32 vcc_lo, v[8:9], v[10:11]
	v_mov_b64_e32 v[8:9], 0
	s_and_saveexec_b32 s10, vcc_lo
; %bb.26:                               ;   in Loop: Header=BB18_6 Depth=1
	ds_load_b64 v[8:9], v24
; %bb.27:                               ;   in Loop: Header=BB18_6 Depth=1
	s_or_b32 exec_lo, exec_lo, s10
.LBB18_28:                              ;   in Loop: Header=BB18_6 Depth=1
	;; [unrolled: 54-line block ×3, first 2 shown]
	s_delay_alu instid0(SALU_CYCLE_1)
	s_or_b32 exec_lo, exec_lo, s1
	s_wait_dscnt 0x0
	s_barrier_signal -1
	s_barrier_wait -1
	ds_load_b64 v[10:11], v14
	s_wait_dscnt 0x0
	v_add_f64_e32 v[10:11], v[8:9], v[10:11]
	v_mov_b64_e32 v[8:9], 0
	ds_store_b64 v14, v[10:11]
	s_wait_dscnt 0x0
	s_barrier_signal -1
	s_barrier_wait -1
	s_and_saveexec_b32 s1, s9
	s_cbranch_execz .LBB18_40
; %bb.37:                               ;   in Loop: Header=BB18_6 Depth=1
	ds_load_b64 v[8:9], v2
	ds_load_b64 v[10:11], v29
	s_wait_dscnt 0x0
	v_cmp_eq_u64_e32 vcc_lo, v[8:9], v[10:11]
	v_mov_b64_e32 v[8:9], 0
	s_and_saveexec_b32 s10, vcc_lo
; %bb.38:                               ;   in Loop: Header=BB18_6 Depth=1
	ds_load_b64 v[8:9], v3
; %bb.39:                               ;   in Loop: Header=BB18_6 Depth=1
	s_or_b32 exec_lo, exec_lo, s10
.LBB18_40:                              ;   in Loop: Header=BB18_6 Depth=1
	s_delay_alu instid0(SALU_CYCLE_1)
	s_or_b32 exec_lo, exec_lo, s1
	s_wait_dscnt 0x0
	s_barrier_signal -1
	s_barrier_wait -1
	ds_load_b64 v[10:11], v14
	s_wait_dscnt 0x0
	v_add_f64_e32 v[8:9], v[8:9], v[10:11]
	v_mov_b64_e32 v[10:11], -1
	ds_store_b64 v14, v[8:9]
	s_wait_dscnt 0x0
	s_barrier_signal -1
	s_barrier_wait -1
	ds_load_b64 v[8:9], v2
	s_and_saveexec_b32 s1, s0
; %bb.41:                               ;   in Loop: Header=BB18_6 Depth=1
	ds_load_b64 v[10:11], v2 offset:8
; %bb.42:                               ;   in Loop: Header=BB18_6 Depth=1
	s_or_b32 exec_lo, exec_lo, s1
	s_wait_dscnt 0x0
	v_cmp_ne_u64_e32 vcc_lo, v[8:9], v[10:11]
	v_cmp_lt_i64_e64 s1, -1, v[8:9]
	s_and_b32 s10, s1, vcc_lo
	s_delay_alu instid0(SALU_CYCLE_1)
	s_and_saveexec_b32 s1, s10
	s_cbranch_execz .LBB18_5
; %bb.43:                               ;   in Loop: Header=BB18_6 Depth=1
	v_lshl_add_u64 v[8:9], v[8:9], 3, s[2:3]
	ds_load_b64 v[12:13], v14
	global_load_b64 v[10:11], v[8:9], off
	s_wait_loadcnt_dscnt 0x0
	v_add_f64_e32 v[10:11], v[10:11], v[12:13]
	global_store_b64 v[8:9], v[10:11], off
	s_branch .LBB18_5
.LBB18_44:
	s_endpgm
	.section	.rodata,"a",@progbits
	.p2align	6, 0x0
	.amdhsa_kernel _ZN9rocsparseL29coomvn_segmented_loops_reduceILj256ElddEEvT0_NS_24const_host_device_scalarIT2_EEPKS1_PKS3_PT1_b
		.amdhsa_group_segment_fixed_size 4096
		.amdhsa_private_segment_fixed_size 0
		.amdhsa_kernarg_size 44
		.amdhsa_user_sgpr_count 2
		.amdhsa_user_sgpr_dispatch_ptr 0
		.amdhsa_user_sgpr_queue_ptr 0
		.amdhsa_user_sgpr_kernarg_segment_ptr 1
		.amdhsa_user_sgpr_dispatch_id 0
		.amdhsa_user_sgpr_kernarg_preload_length 0
		.amdhsa_user_sgpr_kernarg_preload_offset 0
		.amdhsa_user_sgpr_private_segment_size 0
		.amdhsa_wavefront_size32 1
		.amdhsa_uses_dynamic_stack 0
		.amdhsa_enable_private_segment 0
		.amdhsa_system_sgpr_workgroup_id_x 1
		.amdhsa_system_sgpr_workgroup_id_y 0
		.amdhsa_system_sgpr_workgroup_id_z 0
		.amdhsa_system_sgpr_workgroup_info 0
		.amdhsa_system_vgpr_workitem_id 0
		.amdhsa_next_free_vgpr 30
		.amdhsa_next_free_sgpr 18
		.amdhsa_named_barrier_count 0
		.amdhsa_reserve_vcc 1
		.amdhsa_float_round_mode_32 0
		.amdhsa_float_round_mode_16_64 0
		.amdhsa_float_denorm_mode_32 3
		.amdhsa_float_denorm_mode_16_64 3
		.amdhsa_fp16_overflow 0
		.amdhsa_memory_ordered 1
		.amdhsa_forward_progress 1
		.amdhsa_inst_pref_size 13
		.amdhsa_round_robin_scheduling 0
		.amdhsa_exception_fp_ieee_invalid_op 0
		.amdhsa_exception_fp_denorm_src 0
		.amdhsa_exception_fp_ieee_div_zero 0
		.amdhsa_exception_fp_ieee_overflow 0
		.amdhsa_exception_fp_ieee_underflow 0
		.amdhsa_exception_fp_ieee_inexact 0
		.amdhsa_exception_int_div_zero 0
	.end_amdhsa_kernel
	.section	.text._ZN9rocsparseL29coomvn_segmented_loops_reduceILj256ElddEEvT0_NS_24const_host_device_scalarIT2_EEPKS1_PKS3_PT1_b,"axG",@progbits,_ZN9rocsparseL29coomvn_segmented_loops_reduceILj256ElddEEvT0_NS_24const_host_device_scalarIT2_EEPKS1_PKS3_PT1_b,comdat
.Lfunc_end18:
	.size	_ZN9rocsparseL29coomvn_segmented_loops_reduceILj256ElddEEvT0_NS_24const_host_device_scalarIT2_EEPKS1_PKS3_PT1_b, .Lfunc_end18-_ZN9rocsparseL29coomvn_segmented_loops_reduceILj256ElddEEvT0_NS_24const_host_device_scalarIT2_EEPKS1_PKS3_PT1_b
                                        ; -- End function
	.set _ZN9rocsparseL29coomvn_segmented_loops_reduceILj256ElddEEvT0_NS_24const_host_device_scalarIT2_EEPKS1_PKS3_PT1_b.num_vgpr, 30
	.set _ZN9rocsparseL29coomvn_segmented_loops_reduceILj256ElddEEvT0_NS_24const_host_device_scalarIT2_EEPKS1_PKS3_PT1_b.num_agpr, 0
	.set _ZN9rocsparseL29coomvn_segmented_loops_reduceILj256ElddEEvT0_NS_24const_host_device_scalarIT2_EEPKS1_PKS3_PT1_b.numbered_sgpr, 18
	.set _ZN9rocsparseL29coomvn_segmented_loops_reduceILj256ElddEEvT0_NS_24const_host_device_scalarIT2_EEPKS1_PKS3_PT1_b.num_named_barrier, 0
	.set _ZN9rocsparseL29coomvn_segmented_loops_reduceILj256ElddEEvT0_NS_24const_host_device_scalarIT2_EEPKS1_PKS3_PT1_b.private_seg_size, 0
	.set _ZN9rocsparseL29coomvn_segmented_loops_reduceILj256ElddEEvT0_NS_24const_host_device_scalarIT2_EEPKS1_PKS3_PT1_b.uses_vcc, 1
	.set _ZN9rocsparseL29coomvn_segmented_loops_reduceILj256ElddEEvT0_NS_24const_host_device_scalarIT2_EEPKS1_PKS3_PT1_b.uses_flat_scratch, 0
	.set _ZN9rocsparseL29coomvn_segmented_loops_reduceILj256ElddEEvT0_NS_24const_host_device_scalarIT2_EEPKS1_PKS3_PT1_b.has_dyn_sized_stack, 0
	.set _ZN9rocsparseL29coomvn_segmented_loops_reduceILj256ElddEEvT0_NS_24const_host_device_scalarIT2_EEPKS1_PKS3_PT1_b.has_recursion, 0
	.set _ZN9rocsparseL29coomvn_segmented_loops_reduceILj256ElddEEvT0_NS_24const_host_device_scalarIT2_EEPKS1_PKS3_PT1_b.has_indirect_call, 0
	.section	.AMDGPU.csdata,"",@progbits
; Kernel info:
; codeLenInByte = 1592
; TotalNumSgprs: 20
; NumVgprs: 30
; ScratchSize: 0
; MemoryBound: 0
; FloatMode: 240
; IeeeMode: 1
; LDSByteSize: 4096 bytes/workgroup (compile time only)
; SGPRBlocks: 0
; VGPRBlocks: 1
; NumSGPRsForWavesPerEU: 20
; NumVGPRsForWavesPerEU: 30
; NamedBarCnt: 0
; Occupancy: 16
; WaveLimiterHint : 0
; COMPUTE_PGM_RSRC2:SCRATCH_EN: 0
; COMPUTE_PGM_RSRC2:USER_SGPR: 2
; COMPUTE_PGM_RSRC2:TRAP_HANDLER: 0
; COMPUTE_PGM_RSRC2:TGID_X_EN: 1
; COMPUTE_PGM_RSRC2:TGID_Y_EN: 0
; COMPUTE_PGM_RSRC2:TGID_Z_EN: 0
; COMPUTE_PGM_RSRC2:TIDIG_COMP_CNT: 0
	.section	.text._ZN9rocsparseL13coomvt_kernelILj1024ElddddEEv20rocsparse_operation_lNS_24const_host_device_scalarIT4_EEPKT0_S7_PKT1_PKT2_PT3_21rocsparse_index_base_b,"axG",@progbits,_ZN9rocsparseL13coomvt_kernelILj1024ElddddEEv20rocsparse_operation_lNS_24const_host_device_scalarIT4_EEPKT0_S7_PKT1_PKT2_PT3_21rocsparse_index_base_b,comdat
	.globl	_ZN9rocsparseL13coomvt_kernelILj1024ElddddEEv20rocsparse_operation_lNS_24const_host_device_scalarIT4_EEPKT0_S7_PKT1_PKT2_PT3_21rocsparse_index_base_b ; -- Begin function _ZN9rocsparseL13coomvt_kernelILj1024ElddddEEv20rocsparse_operation_lNS_24const_host_device_scalarIT4_EEPKT0_S7_PKT1_PKT2_PT3_21rocsparse_index_base_b
	.p2align	8
	.type	_ZN9rocsparseL13coomvt_kernelILj1024ElddddEEv20rocsparse_operation_lNS_24const_host_device_scalarIT4_EEPKT0_S7_PKT1_PKT2_PT3_21rocsparse_index_base_b,@function
_ZN9rocsparseL13coomvt_kernelILj1024ElddddEEv20rocsparse_operation_lNS_24const_host_device_scalarIT4_EEPKT0_S7_PKT1_PKT2_PT3_21rocsparse_index_base_b: ; @_ZN9rocsparseL13coomvt_kernelILj1024ElddddEEv20rocsparse_operation_lNS_24const_host_device_scalarIT4_EEPKT0_S7_PKT1_PKT2_PT3_21rocsparse_index_base_b
; %bb.0:
	s_clause 0x1
	s_load_b64 s[2:3], s[0:1], 0x40
	s_load_b128 s[4:7], s[0:1], 0x8
	s_wait_kmcnt 0x0
	s_bitcmp1_b32 s3, 0
	v_mov_b64_e32 v[2:3], s[6:7]
	s_cselect_b32 s3, -1, 0
	s_delay_alu instid0(SALU_CYCLE_1)
	s_and_b32 vcc_lo, exec_lo, s3
	s_cbranch_vccnz .LBB19_2
; %bb.1:
	v_mov_b32_e32 v1, 0
	flat_load_b64 v[2:3], v1, s[6:7]
.LBB19_2:
	s_mov_b32 s3, exec_lo
	s_wait_loadcnt_dscnt 0x0
	s_delay_alu instid0(VALU_DEP_1)
	v_cmpx_neq_f64_e32 0, v[2:3]
	s_cbranch_execz .LBB19_5
; %bb.3:
	s_load_b32 s3, s[0:1], 0x54
	s_bfe_u32 s6, ttmp6, 0x4000c
	s_and_b32 s7, ttmp6, 15
	s_add_co_i32 s6, s6, 1
	s_getreg_b32 s8, hwreg(HW_REG_IB_STS2, 6, 4)
	s_mul_i32 s6, ttmp9, s6
	v_mov_b32_e32 v1, 0
	s_add_co_i32 s7, s7, s6
	s_wait_kmcnt 0x0
	s_and_b32 s3, s3, 0xffff
	s_cmp_eq_u32 s8, 0
	s_cselect_b32 s6, ttmp9, s7
	s_delay_alu instid0(SALU_CYCLE_1) | instskip(SKIP_1) | instid1(VALU_DEP_1)
	v_mad_u32 v0, s6, s3, v0
	s_mov_b32 s3, 0
	v_cmp_gt_i64_e32 vcc_lo, s[4:5], v[0:1]
	s_and_b32 exec_lo, exec_lo, vcc_lo
	s_cbranch_execz .LBB19_5
; %bb.4:
	s_load_b256 s[4:11], s[0:1], 0x18
	v_lshlrev_b64_e32 v[0:1], 3, v[0:1]
	s_wait_xcnt 0x0
	s_load_b64 s[0:1], s[0:1], 0x38
	s_wait_kmcnt 0x0
	s_delay_alu instid0(VALU_DEP_1)
	v_add_nc_u64_e32 v[4:5], s[4:5], v[0:1]
	v_add_nc_u64_e32 v[6:7], s[8:9], v[0:1]
	;; [unrolled: 1-line block ×3, first 2 shown]
	global_load_b64 v[4:5], v[4:5], off
	global_load_b64 v[6:7], v[6:7], off
	;; [unrolled: 1-line block ×3, first 2 shown]
	s_wait_loadcnt 0x2
	s_wait_xcnt 0x2
	v_sub_nc_u64_e64 v[4:5], v[4:5], s[2:3]
	s_wait_loadcnt 0x1
	v_mul_f64_e32 v[2:3], v[2:3], v[6:7]
	s_wait_loadcnt 0x0
	v_sub_nc_u64_e64 v[0:1], v[0:1], s[2:3]
	s_delay_alu instid0(VALU_DEP_3) | instskip(NEXT) | instid1(VALU_DEP_2)
	v_lshl_add_u64 v[4:5], v[4:5], 3, s[10:11]
	v_lshl_add_u64 v[0:1], v[0:1], 3, s[0:1]
	global_load_b64 v[4:5], v[4:5], off
	s_wait_loadcnt 0x0
	v_mul_f64_e32 v[2:3], v[2:3], v[4:5]
	global_atomic_add_f64 v[0:1], v[2:3], off scope:SCOPE_DEV
.LBB19_5:
	s_endpgm
	.section	.rodata,"a",@progbits
	.p2align	6, 0x0
	.amdhsa_kernel _ZN9rocsparseL13coomvt_kernelILj1024ElddddEEv20rocsparse_operation_lNS_24const_host_device_scalarIT4_EEPKT0_S7_PKT1_PKT2_PT3_21rocsparse_index_base_b
		.amdhsa_group_segment_fixed_size 0
		.amdhsa_private_segment_fixed_size 0
		.amdhsa_kernarg_size 328
		.amdhsa_user_sgpr_count 2
		.amdhsa_user_sgpr_dispatch_ptr 0
		.amdhsa_user_sgpr_queue_ptr 0
		.amdhsa_user_sgpr_kernarg_segment_ptr 1
		.amdhsa_user_sgpr_dispatch_id 0
		.amdhsa_user_sgpr_kernarg_preload_length 0
		.amdhsa_user_sgpr_kernarg_preload_offset 0
		.amdhsa_user_sgpr_private_segment_size 0
		.amdhsa_wavefront_size32 1
		.amdhsa_uses_dynamic_stack 0
		.amdhsa_enable_private_segment 0
		.amdhsa_system_sgpr_workgroup_id_x 1
		.amdhsa_system_sgpr_workgroup_id_y 0
		.amdhsa_system_sgpr_workgroup_id_z 0
		.amdhsa_system_sgpr_workgroup_info 0
		.amdhsa_system_vgpr_workitem_id 0
		.amdhsa_next_free_vgpr 8
		.amdhsa_next_free_sgpr 12
		.amdhsa_named_barrier_count 0
		.amdhsa_reserve_vcc 1
		.amdhsa_float_round_mode_32 0
		.amdhsa_float_round_mode_16_64 0
		.amdhsa_float_denorm_mode_32 3
		.amdhsa_float_denorm_mode_16_64 3
		.amdhsa_fp16_overflow 0
		.amdhsa_memory_ordered 1
		.amdhsa_forward_progress 1
		.amdhsa_inst_pref_size 3
		.amdhsa_round_robin_scheduling 0
		.amdhsa_exception_fp_ieee_invalid_op 0
		.amdhsa_exception_fp_denorm_src 0
		.amdhsa_exception_fp_ieee_div_zero 0
		.amdhsa_exception_fp_ieee_overflow 0
		.amdhsa_exception_fp_ieee_underflow 0
		.amdhsa_exception_fp_ieee_inexact 0
		.amdhsa_exception_int_div_zero 0
	.end_amdhsa_kernel
	.section	.text._ZN9rocsparseL13coomvt_kernelILj1024ElddddEEv20rocsparse_operation_lNS_24const_host_device_scalarIT4_EEPKT0_S7_PKT1_PKT2_PT3_21rocsparse_index_base_b,"axG",@progbits,_ZN9rocsparseL13coomvt_kernelILj1024ElddddEEv20rocsparse_operation_lNS_24const_host_device_scalarIT4_EEPKT0_S7_PKT1_PKT2_PT3_21rocsparse_index_base_b,comdat
.Lfunc_end19:
	.size	_ZN9rocsparseL13coomvt_kernelILj1024ElddddEEv20rocsparse_operation_lNS_24const_host_device_scalarIT4_EEPKT0_S7_PKT1_PKT2_PT3_21rocsparse_index_base_b, .Lfunc_end19-_ZN9rocsparseL13coomvt_kernelILj1024ElddddEEv20rocsparse_operation_lNS_24const_host_device_scalarIT4_EEPKT0_S7_PKT1_PKT2_PT3_21rocsparse_index_base_b
                                        ; -- End function
	.set _ZN9rocsparseL13coomvt_kernelILj1024ElddddEEv20rocsparse_operation_lNS_24const_host_device_scalarIT4_EEPKT0_S7_PKT1_PKT2_PT3_21rocsparse_index_base_b.num_vgpr, 8
	.set _ZN9rocsparseL13coomvt_kernelILj1024ElddddEEv20rocsparse_operation_lNS_24const_host_device_scalarIT4_EEPKT0_S7_PKT1_PKT2_PT3_21rocsparse_index_base_b.num_agpr, 0
	.set _ZN9rocsparseL13coomvt_kernelILj1024ElddddEEv20rocsparse_operation_lNS_24const_host_device_scalarIT4_EEPKT0_S7_PKT1_PKT2_PT3_21rocsparse_index_base_b.numbered_sgpr, 12
	.set _ZN9rocsparseL13coomvt_kernelILj1024ElddddEEv20rocsparse_operation_lNS_24const_host_device_scalarIT4_EEPKT0_S7_PKT1_PKT2_PT3_21rocsparse_index_base_b.num_named_barrier, 0
	.set _ZN9rocsparseL13coomvt_kernelILj1024ElddddEEv20rocsparse_operation_lNS_24const_host_device_scalarIT4_EEPKT0_S7_PKT1_PKT2_PT3_21rocsparse_index_base_b.private_seg_size, 0
	.set _ZN9rocsparseL13coomvt_kernelILj1024ElddddEEv20rocsparse_operation_lNS_24const_host_device_scalarIT4_EEPKT0_S7_PKT1_PKT2_PT3_21rocsparse_index_base_b.uses_vcc, 1
	.set _ZN9rocsparseL13coomvt_kernelILj1024ElddddEEv20rocsparse_operation_lNS_24const_host_device_scalarIT4_EEPKT0_S7_PKT1_PKT2_PT3_21rocsparse_index_base_b.uses_flat_scratch, 0
	.set _ZN9rocsparseL13coomvt_kernelILj1024ElddddEEv20rocsparse_operation_lNS_24const_host_device_scalarIT4_EEPKT0_S7_PKT1_PKT2_PT3_21rocsparse_index_base_b.has_dyn_sized_stack, 0
	.set _ZN9rocsparseL13coomvt_kernelILj1024ElddddEEv20rocsparse_operation_lNS_24const_host_device_scalarIT4_EEPKT0_S7_PKT1_PKT2_PT3_21rocsparse_index_base_b.has_recursion, 0
	.set _ZN9rocsparseL13coomvt_kernelILj1024ElddddEEv20rocsparse_operation_lNS_24const_host_device_scalarIT4_EEPKT0_S7_PKT1_PKT2_PT3_21rocsparse_index_base_b.has_indirect_call, 0
	.section	.AMDGPU.csdata,"",@progbits
; Kernel info:
; codeLenInByte = 344
; TotalNumSgprs: 14
; NumVgprs: 8
; ScratchSize: 0
; MemoryBound: 0
; FloatMode: 240
; IeeeMode: 1
; LDSByteSize: 0 bytes/workgroup (compile time only)
; SGPRBlocks: 0
; VGPRBlocks: 0
; NumSGPRsForWavesPerEU: 14
; NumVGPRsForWavesPerEU: 8
; NamedBarCnt: 0
; Occupancy: 16
; WaveLimiterHint : 1
; COMPUTE_PGM_RSRC2:SCRATCH_EN: 0
; COMPUTE_PGM_RSRC2:USER_SGPR: 2
; COMPUTE_PGM_RSRC2:TRAP_HANDLER: 0
; COMPUTE_PGM_RSRC2:TGID_X_EN: 1
; COMPUTE_PGM_RSRC2:TGID_Y_EN: 0
; COMPUTE_PGM_RSRC2:TGID_Z_EN: 0
; COMPUTE_PGM_RSRC2:TIDIG_COMP_CNT: 0
	.section	.text._ZN9rocsparseL19coomvn_atomic_loopsILj256ELj1ElddddEEvlNS_24const_host_device_scalarIT5_EEPKT1_S6_PKT2_PKT3_PT4_21rocsparse_index_base_b,"axG",@progbits,_ZN9rocsparseL19coomvn_atomic_loopsILj256ELj1ElddddEEvlNS_24const_host_device_scalarIT5_EEPKT1_S6_PKT2_PKT3_PT4_21rocsparse_index_base_b,comdat
	.globl	_ZN9rocsparseL19coomvn_atomic_loopsILj256ELj1ElddddEEvlNS_24const_host_device_scalarIT5_EEPKT1_S6_PKT2_PKT3_PT4_21rocsparse_index_base_b ; -- Begin function _ZN9rocsparseL19coomvn_atomic_loopsILj256ELj1ElddddEEvlNS_24const_host_device_scalarIT5_EEPKT1_S6_PKT2_PKT3_PT4_21rocsparse_index_base_b
	.p2align	8
	.type	_ZN9rocsparseL19coomvn_atomic_loopsILj256ELj1ElddddEEvlNS_24const_host_device_scalarIT5_EEPKT1_S6_PKT2_PKT3_PT4_21rocsparse_index_base_b,@function
_ZN9rocsparseL19coomvn_atomic_loopsILj256ELj1ElddddEEvlNS_24const_host_device_scalarIT5_EEPKT1_S6_PKT2_PKT3_PT4_21rocsparse_index_base_b: ; @_ZN9rocsparseL19coomvn_atomic_loopsILj256ELj1ElddddEEvlNS_24const_host_device_scalarIT5_EEPKT1_S6_PKT2_PKT3_PT4_21rocsparse_index_base_b
; %bb.0:
	s_clause 0x1
	s_load_b64 s[2:3], s[0:1], 0x38
	s_load_b128 s[4:7], s[0:1], 0x0
	s_wait_kmcnt 0x0
	s_bitcmp1_b32 s3, 0
	v_mov_b64_e32 v[2:3], s[6:7]
	s_cselect_b32 s3, -1, 0
	s_delay_alu instid0(SALU_CYCLE_1)
	s_and_b32 vcc_lo, exec_lo, s3
	s_cbranch_vccnz .LBB20_2
; %bb.1:
	v_mov_b32_e32 v1, 0
	flat_load_b64 v[2:3], v1, s[6:7]
.LBB20_2:
	s_mov_b32 s3, exec_lo
	s_wait_loadcnt_dscnt 0x0
	s_delay_alu instid0(VALU_DEP_1)
	v_cmpx_neq_f64_e32 0, v[2:3]
	s_cbranch_execz .LBB20_42
; %bb.3:
	s_bfe_u32 s3, ttmp6, 0x4000c
	s_and_b32 s6, ttmp6, 15
	s_add_co_i32 s3, s3, 1
	s_getreg_b32 s7, hwreg(HW_REG_IB_STS2, 6, 4)
	s_mul_i32 s3, ttmp9, s3
	v_mov_b32_e32 v9, 0
	s_add_co_i32 s6, s6, s3
	s_cmp_eq_u32 s7, 0
	v_mov_b64_e32 v[4:5], -1
	s_cselect_b32 s3, ttmp9, s6
	v_mov_b64_e32 v[6:7], 0
	v_lshl_or_b32 v8, s3, 8, v0
	s_mov_b32 s3, 0
	s_delay_alu instid0(VALU_DEP_1)
	v_cmp_gt_i64_e32 vcc_lo, s[4:5], v[8:9]
	s_and_saveexec_b32 s4, vcc_lo
	s_cbranch_execz .LBB20_5
; %bb.4:
	s_load_b256 s[8:15], s[0:1], 0x10
	v_lshlrev_b64_e32 v[4:5], 3, v[8:9]
	s_wait_kmcnt 0x0
	s_delay_alu instid0(VALU_DEP_1)
	v_add_nc_u64_e32 v[6:7], s[10:11], v[4:5]
	v_add_nc_u64_e32 v[8:9], s[12:13], v[4:5]
	;; [unrolled: 1-line block ×3, first 2 shown]
	global_load_b64 v[6:7], v[6:7], off th:TH_LOAD_NT
	s_wait_loadcnt 0x0
	v_sub_nc_u64_e64 v[6:7], v[6:7], s[2:3]
	s_delay_alu instid0(VALU_DEP_1)
	v_lshl_add_u64 v[6:7], v[6:7], 3, s[14:15]
	global_load_b64 v[10:11], v[8:9], off th:TH_LOAD_NT
	global_load_b64 v[12:13], v[6:7], off
	global_load_b64 v[4:5], v[4:5], off th:TH_LOAD_NT
	s_wait_loadcnt 0x1
	s_wait_xcnt 0x1
	v_mul_f64_e32 v[6:7], v[10:11], v[12:13]
	s_wait_loadcnt 0x0
	v_sub_nc_u64_e64 v[4:5], v[4:5], s[2:3]
.LBB20_5:
	s_or_b32 exec_lo, exec_lo, s4
	v_lshlrev_b32_e32 v1, 3, v0
	s_mov_b32 s2, exec_lo
	s_delay_alu instid0(VALU_DEP_1)
	v_or_b32_e32 v8, 0x800, v1
	ds_store_2addr_stride64_b64 v1, v[4:5], v[6:7] offset1:4
	s_wait_dscnt 0x0
	s_barrier_signal -1
	s_barrier_wait -1
	v_cmpx_ne_u32_e32 0, v0
	s_cbranch_execz .LBB20_9
; %bb.6:
	v_add_nc_u32_e32 v9, -8, v1
	s_mov_b32 s3, exec_lo
	ds_load_b64 v[10:11], v9
	s_wait_dscnt 0x0
	v_cmpx_eq_u64_e64 v[4:5], v[10:11]
	s_cbranch_execz .LBB20_8
; %bb.7:
	v_add_nc_u32_e32 v9, -8, v8
	ds_load_b64 v[10:11], v9
	s_wait_dscnt 0x0
	v_add_f64_e32 v[6:7], v[6:7], v[10:11]
.LBB20_8:
	s_or_b32 exec_lo, exec_lo, s3
.LBB20_9:
	s_delay_alu instid0(SALU_CYCLE_1) | instskip(NEXT) | instid1(SALU_CYCLE_1)
	s_or_b32 exec_lo, exec_lo, s2
	s_mov_b32 s2, exec_lo
	s_barrier_signal -1
	s_barrier_wait -1
	ds_store_b64 v8, v[6:7]
	s_wait_dscnt 0x0
	s_barrier_signal -1
	s_barrier_wait -1
	v_cmpx_lt_u32_e32 1, v0
	s_cbranch_execz .LBB20_13
; %bb.10:
	v_add_nc_u32_e32 v9, -16, v1
	s_mov_b32 s3, exec_lo
	ds_load_b64 v[10:11], v9
	s_wait_dscnt 0x0
	v_cmpx_eq_u64_e64 v[4:5], v[10:11]
	s_cbranch_execz .LBB20_12
; %bb.11:
	v_add_nc_u32_e32 v9, -16, v8
	ds_load_b64 v[10:11], v9
	s_wait_dscnt 0x0
	v_add_f64_e32 v[6:7], v[6:7], v[10:11]
.LBB20_12:
	s_or_b32 exec_lo, exec_lo, s3
.LBB20_13:
	s_delay_alu instid0(SALU_CYCLE_1) | instskip(NEXT) | instid1(SALU_CYCLE_1)
	s_or_b32 exec_lo, exec_lo, s2
	s_mov_b32 s2, exec_lo
	s_barrier_signal -1
	s_barrier_wait -1
	ds_store_b64 v8, v[6:7]
	s_wait_dscnt 0x0
	s_barrier_signal -1
	s_barrier_wait -1
	v_cmpx_lt_u32_e32 3, v0
	s_cbranch_execz .LBB20_17
; %bb.14:
	v_subrev_nc_u32_e32 v9, 32, v1
	s_mov_b32 s3, exec_lo
	ds_load_b64 v[10:11], v9
	s_wait_dscnt 0x0
	v_cmpx_eq_u64_e64 v[4:5], v[10:11]
	s_cbranch_execz .LBB20_16
; %bb.15:
	v_subrev_nc_u32_e32 v9, 32, v8
	ds_load_b64 v[10:11], v9
	s_wait_dscnt 0x0
	v_add_f64_e32 v[6:7], v[6:7], v[10:11]
.LBB20_16:
	s_or_b32 exec_lo, exec_lo, s3
.LBB20_17:
	s_delay_alu instid0(SALU_CYCLE_1) | instskip(NEXT) | instid1(SALU_CYCLE_1)
	s_or_b32 exec_lo, exec_lo, s2
	s_mov_b32 s2, exec_lo
	s_barrier_signal -1
	s_barrier_wait -1
	ds_store_b64 v8, v[6:7]
	s_wait_dscnt 0x0
	s_barrier_signal -1
	s_barrier_wait -1
	v_cmpx_lt_u32_e32 7, v0
	s_cbranch_execz .LBB20_21
; %bb.18:
	v_subrev_nc_u32_e32 v9, 64, v1
	s_mov_b32 s3, exec_lo
	ds_load_b64 v[10:11], v9
	s_wait_dscnt 0x0
	v_cmpx_eq_u64_e64 v[4:5], v[10:11]
	s_cbranch_execz .LBB20_20
; %bb.19:
	v_subrev_nc_u32_e32 v9, 64, v8
	ds_load_b64 v[10:11], v9
	s_wait_dscnt 0x0
	v_add_f64_e32 v[6:7], v[6:7], v[10:11]
.LBB20_20:
	s_or_b32 exec_lo, exec_lo, s3
.LBB20_21:
	s_delay_alu instid0(SALU_CYCLE_1) | instskip(NEXT) | instid1(SALU_CYCLE_1)
	s_or_b32 exec_lo, exec_lo, s2
	s_mov_b32 s2, exec_lo
	s_barrier_signal -1
	s_barrier_wait -1
	ds_store_b64 v8, v[6:7]
	s_wait_dscnt 0x0
	s_barrier_signal -1
	s_barrier_wait -1
	v_cmpx_lt_u32_e32 15, v0
	s_cbranch_execz .LBB20_25
; %bb.22:
	v_add_nc_u32_e32 v9, 0xffffff80, v1
	s_mov_b32 s3, exec_lo
	ds_load_b64 v[10:11], v9
	s_wait_dscnt 0x0
	v_cmpx_eq_u64_e64 v[4:5], v[10:11]
	s_cbranch_execz .LBB20_24
; %bb.23:
	v_add_nc_u32_e32 v9, 0xffffff80, v8
	ds_load_b64 v[10:11], v9
	s_wait_dscnt 0x0
	v_add_f64_e32 v[6:7], v[6:7], v[10:11]
.LBB20_24:
	s_or_b32 exec_lo, exec_lo, s3
.LBB20_25:
	s_delay_alu instid0(SALU_CYCLE_1) | instskip(NEXT) | instid1(SALU_CYCLE_1)
	s_or_b32 exec_lo, exec_lo, s2
	s_mov_b32 s2, exec_lo
	s_barrier_signal -1
	s_barrier_wait -1
	ds_store_b64 v8, v[6:7]
	s_wait_dscnt 0x0
	s_barrier_signal -1
	s_barrier_wait -1
	v_cmpx_lt_u32_e32 31, v0
	s_cbranch_execz .LBB20_29
; %bb.26:
	v_add_nc_u32_e32 v9, 0xffffff00, v1
	s_mov_b32 s3, exec_lo
	ds_load_b64 v[10:11], v9
	s_wait_dscnt 0x0
	v_cmpx_eq_u64_e64 v[4:5], v[10:11]
	s_cbranch_execz .LBB20_28
; %bb.27:
	v_add_nc_u32_e32 v9, 0xffffff00, v8
	ds_load_b64 v[10:11], v9
	s_wait_dscnt 0x0
	v_add_f64_e32 v[6:7], v[6:7], v[10:11]
.LBB20_28:
	s_or_b32 exec_lo, exec_lo, s3
.LBB20_29:
	;; [unrolled: 26-line block ×4, first 2 shown]
	s_delay_alu instid0(SALU_CYCLE_1)
	s_or_b32 exec_lo, exec_lo, s2
	s_load_b64 s[2:3], s[0:1], 0x30
	s_wait_xcnt 0x0
	s_mov_b32 s1, exec_lo
	s_barrier_signal -1
	s_barrier_wait -1
	ds_store_b64 v8, v[6:7]
	s_wait_dscnt 0x0
	s_barrier_signal -1
	s_barrier_wait -1
	v_cmpx_gt_u32_e32 0xff, v0
	s_cbranch_execz .LBB20_40
; %bb.38:
	ds_load_b64 v[8:9], v1 offset:8
	v_cmp_lt_i64_e64 s0, -1, v[4:5]
	s_wait_dscnt 0x0
	v_cmp_ne_u64_e32 vcc_lo, v[4:5], v[8:9]
	s_and_b32 s0, s0, vcc_lo
	s_delay_alu instid0(SALU_CYCLE_1)
	s_and_b32 exec_lo, exec_lo, s0
	s_cbranch_execz .LBB20_40
; %bb.39:
	v_mul_f64_e32 v[8:9], v[2:3], v[6:7]
	s_wait_kmcnt 0x0
	v_lshl_add_u64 v[10:11], v[4:5], 3, s[2:3]
	global_atomic_add_f64 v[10:11], v[8:9], off scope:SCOPE_DEV
.LBB20_40:
	s_wait_xcnt 0x0
	s_or_b32 exec_lo, exec_lo, s1
	v_cmp_lt_i64_e32 vcc_lo, -1, v[4:5]
	v_cmp_eq_u32_e64 s0, 0xff, v0
	s_and_b32 s0, s0, vcc_lo
	s_delay_alu instid0(SALU_CYCLE_1)
	s_and_b32 exec_lo, exec_lo, s0
	s_cbranch_execz .LBB20_42
; %bb.41:
	v_mul_f64_e32 v[0:1], v[2:3], v[6:7]
	s_wait_kmcnt 0x0
	v_lshl_add_u64 v[2:3], v[4:5], 3, s[2:3]
	global_atomic_add_f64 v[2:3], v[0:1], off scope:SCOPE_DEV
.LBB20_42:
	s_endpgm
	.section	.rodata,"a",@progbits
	.p2align	6, 0x0
	.amdhsa_kernel _ZN9rocsparseL19coomvn_atomic_loopsILj256ELj1ElddddEEvlNS_24const_host_device_scalarIT5_EEPKT1_S6_PKT2_PKT3_PT4_21rocsparse_index_base_b
		.amdhsa_group_segment_fixed_size 4096
		.amdhsa_private_segment_fixed_size 0
		.amdhsa_kernarg_size 64
		.amdhsa_user_sgpr_count 2
		.amdhsa_user_sgpr_dispatch_ptr 0
		.amdhsa_user_sgpr_queue_ptr 0
		.amdhsa_user_sgpr_kernarg_segment_ptr 1
		.amdhsa_user_sgpr_dispatch_id 0
		.amdhsa_user_sgpr_kernarg_preload_length 0
		.amdhsa_user_sgpr_kernarg_preload_offset 0
		.amdhsa_user_sgpr_private_segment_size 0
		.amdhsa_wavefront_size32 1
		.amdhsa_uses_dynamic_stack 0
		.amdhsa_enable_private_segment 0
		.amdhsa_system_sgpr_workgroup_id_x 1
		.amdhsa_system_sgpr_workgroup_id_y 0
		.amdhsa_system_sgpr_workgroup_id_z 0
		.amdhsa_system_sgpr_workgroup_info 0
		.amdhsa_system_vgpr_workitem_id 0
		.amdhsa_next_free_vgpr 14
		.amdhsa_next_free_sgpr 16
		.amdhsa_named_barrier_count 0
		.amdhsa_reserve_vcc 1
		.amdhsa_float_round_mode_32 0
		.amdhsa_float_round_mode_16_64 0
		.amdhsa_float_denorm_mode_32 3
		.amdhsa_float_denorm_mode_16_64 3
		.amdhsa_fp16_overflow 0
		.amdhsa_memory_ordered 1
		.amdhsa_forward_progress 1
		.amdhsa_inst_pref_size 11
		.amdhsa_round_robin_scheduling 0
		.amdhsa_exception_fp_ieee_invalid_op 0
		.amdhsa_exception_fp_denorm_src 0
		.amdhsa_exception_fp_ieee_div_zero 0
		.amdhsa_exception_fp_ieee_overflow 0
		.amdhsa_exception_fp_ieee_underflow 0
		.amdhsa_exception_fp_ieee_inexact 0
		.amdhsa_exception_int_div_zero 0
	.end_amdhsa_kernel
	.section	.text._ZN9rocsparseL19coomvn_atomic_loopsILj256ELj1ElddddEEvlNS_24const_host_device_scalarIT5_EEPKT1_S6_PKT2_PKT3_PT4_21rocsparse_index_base_b,"axG",@progbits,_ZN9rocsparseL19coomvn_atomic_loopsILj256ELj1ElddddEEvlNS_24const_host_device_scalarIT5_EEPKT1_S6_PKT2_PKT3_PT4_21rocsparse_index_base_b,comdat
.Lfunc_end20:
	.size	_ZN9rocsparseL19coomvn_atomic_loopsILj256ELj1ElddddEEvlNS_24const_host_device_scalarIT5_EEPKT1_S6_PKT2_PKT3_PT4_21rocsparse_index_base_b, .Lfunc_end20-_ZN9rocsparseL19coomvn_atomic_loopsILj256ELj1ElddddEEvlNS_24const_host_device_scalarIT5_EEPKT1_S6_PKT2_PKT3_PT4_21rocsparse_index_base_b
                                        ; -- End function
	.set _ZN9rocsparseL19coomvn_atomic_loopsILj256ELj1ElddddEEvlNS_24const_host_device_scalarIT5_EEPKT1_S6_PKT2_PKT3_PT4_21rocsparse_index_base_b.num_vgpr, 14
	.set _ZN9rocsparseL19coomvn_atomic_loopsILj256ELj1ElddddEEvlNS_24const_host_device_scalarIT5_EEPKT1_S6_PKT2_PKT3_PT4_21rocsparse_index_base_b.num_agpr, 0
	.set _ZN9rocsparseL19coomvn_atomic_loopsILj256ELj1ElddddEEvlNS_24const_host_device_scalarIT5_EEPKT1_S6_PKT2_PKT3_PT4_21rocsparse_index_base_b.numbered_sgpr, 16
	.set _ZN9rocsparseL19coomvn_atomic_loopsILj256ELj1ElddddEEvlNS_24const_host_device_scalarIT5_EEPKT1_S6_PKT2_PKT3_PT4_21rocsparse_index_base_b.num_named_barrier, 0
	.set _ZN9rocsparseL19coomvn_atomic_loopsILj256ELj1ElddddEEvlNS_24const_host_device_scalarIT5_EEPKT1_S6_PKT2_PKT3_PT4_21rocsparse_index_base_b.private_seg_size, 0
	.set _ZN9rocsparseL19coomvn_atomic_loopsILj256ELj1ElddddEEvlNS_24const_host_device_scalarIT5_EEPKT1_S6_PKT2_PKT3_PT4_21rocsparse_index_base_b.uses_vcc, 1
	.set _ZN9rocsparseL19coomvn_atomic_loopsILj256ELj1ElddddEEvlNS_24const_host_device_scalarIT5_EEPKT1_S6_PKT2_PKT3_PT4_21rocsparse_index_base_b.uses_flat_scratch, 0
	.set _ZN9rocsparseL19coomvn_atomic_loopsILj256ELj1ElddddEEvlNS_24const_host_device_scalarIT5_EEPKT1_S6_PKT2_PKT3_PT4_21rocsparse_index_base_b.has_dyn_sized_stack, 0
	.set _ZN9rocsparseL19coomvn_atomic_loopsILj256ELj1ElddddEEvlNS_24const_host_device_scalarIT5_EEPKT1_S6_PKT2_PKT3_PT4_21rocsparse_index_base_b.has_recursion, 0
	.set _ZN9rocsparseL19coomvn_atomic_loopsILj256ELj1ElddddEEvlNS_24const_host_device_scalarIT5_EEPKT1_S6_PKT2_PKT3_PT4_21rocsparse_index_base_b.has_indirect_call, 0
	.section	.AMDGPU.csdata,"",@progbits
; Kernel info:
; codeLenInByte = 1364
; TotalNumSgprs: 18
; NumVgprs: 14
; ScratchSize: 0
; MemoryBound: 1
; FloatMode: 240
; IeeeMode: 1
; LDSByteSize: 4096 bytes/workgroup (compile time only)
; SGPRBlocks: 0
; VGPRBlocks: 0
; NumSGPRsForWavesPerEU: 18
; NumVGPRsForWavesPerEU: 14
; NamedBarCnt: 0
; Occupancy: 16
; WaveLimiterHint : 1
; COMPUTE_PGM_RSRC2:SCRATCH_EN: 0
; COMPUTE_PGM_RSRC2:USER_SGPR: 2
; COMPUTE_PGM_RSRC2:TRAP_HANDLER: 0
; COMPUTE_PGM_RSRC2:TGID_X_EN: 1
; COMPUTE_PGM_RSRC2:TGID_Y_EN: 0
; COMPUTE_PGM_RSRC2:TGID_Z_EN: 0
; COMPUTE_PGM_RSRC2:TIDIG_COMP_CNT: 0
	.section	.text._ZN9rocsparseL19coomvn_atomic_loopsILj256ELj2ElddddEEvlNS_24const_host_device_scalarIT5_EEPKT1_S6_PKT2_PKT3_PT4_21rocsparse_index_base_b,"axG",@progbits,_ZN9rocsparseL19coomvn_atomic_loopsILj256ELj2ElddddEEvlNS_24const_host_device_scalarIT5_EEPKT1_S6_PKT2_PKT3_PT4_21rocsparse_index_base_b,comdat
	.globl	_ZN9rocsparseL19coomvn_atomic_loopsILj256ELj2ElddddEEvlNS_24const_host_device_scalarIT5_EEPKT1_S6_PKT2_PKT3_PT4_21rocsparse_index_base_b ; -- Begin function _ZN9rocsparseL19coomvn_atomic_loopsILj256ELj2ElddddEEvlNS_24const_host_device_scalarIT5_EEPKT1_S6_PKT2_PKT3_PT4_21rocsparse_index_base_b
	.p2align	8
	.type	_ZN9rocsparseL19coomvn_atomic_loopsILj256ELj2ElddddEEvlNS_24const_host_device_scalarIT5_EEPKT1_S6_PKT2_PKT3_PT4_21rocsparse_index_base_b,@function
_ZN9rocsparseL19coomvn_atomic_loopsILj256ELj2ElddddEEvlNS_24const_host_device_scalarIT5_EEPKT1_S6_PKT2_PKT3_PT4_21rocsparse_index_base_b: ; @_ZN9rocsparseL19coomvn_atomic_loopsILj256ELj2ElddddEEvlNS_24const_host_device_scalarIT5_EEPKT1_S6_PKT2_PKT3_PT4_21rocsparse_index_base_b
; %bb.0:
	s_clause 0x1
	s_load_b64 s[24:25], s[0:1], 0x38
	s_load_b128 s[20:23], s[0:1], 0x0
	s_wait_kmcnt 0x0
	s_bitcmp1_b32 s25, 0
	v_mov_b64_e32 v[2:3], s[22:23]
	s_cselect_b32 s2, -1, 0
	s_delay_alu instid0(SALU_CYCLE_1)
	s_and_b32 vcc_lo, exec_lo, s2
	s_cbranch_vccnz .LBB21_2
; %bb.1:
	v_mov_b32_e32 v1, 0
	flat_load_b64 v[2:3], v1, s[22:23]
.LBB21_2:
	s_mov_b32 s2, exec_lo
	s_wait_loadcnt_dscnt 0x0
	s_delay_alu instid0(VALU_DEP_1)
	v_cmpx_neq_f64_e32 0, v[2:3]
	s_cbranch_execz .LBB21_90
; %bb.3:
	s_bfe_u32 s2, ttmp6, 0x4000c
	s_load_b256 s[12:19], s[0:1], 0x10
	s_add_co_i32 s2, s2, 1
	s_and_b32 s3, ttmp6, 15
	s_mul_i32 s2, ttmp9, s2
	s_getreg_b32 s4, hwreg(HW_REG_IB_STS2, 6, 4)
	s_add_co_i32 s3, s3, s2
	s_cmp_eq_u32 s4, 0
	v_mov_b32_e32 v7, 0
	s_cselect_b32 s2, ttmp9, s3
	v_mov_b64_e32 v[8:9], -1
	v_lshl_or_b32 v6, s2, 9, v0
	v_mov_b64_e32 v[10:11], 0
	s_mov_b32 s25, 0
	s_mov_b32 s2, exec_lo
	s_delay_alu instid0(VALU_DEP_2)
	v_lshlrev_b64_e32 v[4:5], 3, v[6:7]
	v_cmpx_gt_i64_e64 s[20:21], v[6:7]
	s_cbranch_execz .LBB21_5
; %bb.4:
	s_wait_kmcnt 0x0
	s_delay_alu instid0(VALU_DEP_2) | instskip(SKIP_4) | instid1(VALU_DEP_1)
	v_add_nc_u64_e32 v[8:9], s[14:15], v[4:5]
	v_add_nc_u64_e32 v[10:11], s[16:17], v[4:5]
	global_load_b64 v[8:9], v[8:9], off th:TH_LOAD_NT
	s_wait_loadcnt 0x0
	v_sub_nc_u64_e64 v[8:9], v[8:9], s[24:25]
	v_lshl_add_u64 v[8:9], v[8:9], 3, s[18:19]
	global_load_b64 v[12:13], v[10:11], off th:TH_LOAD_NT
	global_load_b64 v[14:15], v[8:9], off
	s_wait_xcnt 0x0
	v_add_nc_u64_e32 v[8:9], s[12:13], v[4:5]
	global_load_b64 v[8:9], v[8:9], off th:TH_LOAD_NT
	s_wait_loadcnt 0x1
	v_mul_f64_e32 v[10:11], v[12:13], v[14:15]
	s_wait_loadcnt 0x0
	v_sub_nc_u64_e64 v[8:9], v[8:9], s[24:25]
.LBB21_5:
	s_or_b32 exec_lo, exec_lo, s2
	v_lshlrev_b32_e32 v1, 3, v0
	v_cmp_ne_u32_e64 s2, 0, v0
	v_cmp_eq_u32_e32 vcc_lo, 0, v0
	s_delay_alu instid0(VALU_DEP_3)
	v_or_b32_e32 v14, 0x800, v1
	v_add_nc_u32_e32 v15, -8, v1
	ds_store_2addr_stride64_b64 v1, v[8:9], v[10:11] offset1:4
	s_wait_dscnt 0x0
	s_barrier_signal -1
	s_barrier_wait -1
	s_and_saveexec_b32 s4, s2
	s_cbranch_execz .LBB21_9
; %bb.6:
	ds_load_b64 v[12:13], v15
	s_mov_b32 s5, exec_lo
	s_wait_dscnt 0x0
	v_cmpx_eq_u64_e64 v[8:9], v[12:13]
	s_cbranch_execz .LBB21_8
; %bb.7:
	v_add_nc_u32_e32 v12, -8, v14
	ds_load_b64 v[12:13], v12
	s_wait_dscnt 0x0
	v_add_f64_e32 v[10:11], v[10:11], v[12:13]
.LBB21_8:
	s_or_b32 exec_lo, exec_lo, s5
.LBB21_9:
	s_delay_alu instid0(SALU_CYCLE_1)
	s_or_b32 exec_lo, exec_lo, s4
	v_cmp_lt_u32_e64 s3, 1, v0
	v_add_nc_u32_e32 v16, -16, v1
	s_barrier_signal -1
	s_barrier_wait -1
	ds_store_b64 v14, v[10:11]
	s_wait_dscnt 0x0
	s_barrier_signal -1
	s_barrier_wait -1
	s_and_saveexec_b32 s5, s3
	s_cbranch_execz .LBB21_13
; %bb.10:
	ds_load_b64 v[12:13], v16
	s_mov_b32 s6, exec_lo
	s_wait_dscnt 0x0
	v_cmpx_eq_u64_e64 v[8:9], v[12:13]
	s_cbranch_execz .LBB21_12
; %bb.11:
	v_add_nc_u32_e32 v12, -16, v14
	ds_load_b64 v[12:13], v12
	s_wait_dscnt 0x0
	v_add_f64_e32 v[10:11], v[10:11], v[12:13]
.LBB21_12:
	s_or_b32 exec_lo, exec_lo, s6
.LBB21_13:
	s_delay_alu instid0(SALU_CYCLE_1)
	s_or_b32 exec_lo, exec_lo, s5
	v_cmp_lt_u32_e64 s4, 3, v0
	v_subrev_nc_u32_e32 v17, 32, v1
	s_barrier_signal -1
	s_barrier_wait -1
	ds_store_b64 v14, v[10:11]
	s_wait_dscnt 0x0
	s_barrier_signal -1
	s_barrier_wait -1
	s_and_saveexec_b32 s6, s4
	s_cbranch_execz .LBB21_17
; %bb.14:
	ds_load_b64 v[12:13], v17
	s_mov_b32 s7, exec_lo
	s_wait_dscnt 0x0
	v_cmpx_eq_u64_e64 v[8:9], v[12:13]
	s_cbranch_execz .LBB21_16
; %bb.15:
	v_subrev_nc_u32_e32 v12, 32, v14
	ds_load_b64 v[12:13], v12
	s_wait_dscnt 0x0
	v_add_f64_e32 v[10:11], v[10:11], v[12:13]
.LBB21_16:
	s_or_b32 exec_lo, exec_lo, s7
.LBB21_17:
	s_delay_alu instid0(SALU_CYCLE_1)
	s_or_b32 exec_lo, exec_lo, s6
	v_cmp_lt_u32_e64 s5, 7, v0
	v_subrev_nc_u32_e32 v18, 64, v1
	s_barrier_signal -1
	s_barrier_wait -1
	ds_store_b64 v14, v[10:11]
	s_wait_dscnt 0x0
	s_barrier_signal -1
	s_barrier_wait -1
	s_and_saveexec_b32 s7, s5
	s_cbranch_execz .LBB21_21
; %bb.18:
	ds_load_b64 v[12:13], v18
	s_mov_b32 s8, exec_lo
	s_wait_dscnt 0x0
	v_cmpx_eq_u64_e64 v[8:9], v[12:13]
	s_cbranch_execz .LBB21_20
; %bb.19:
	v_subrev_nc_u32_e32 v12, 64, v14
	ds_load_b64 v[12:13], v12
	s_wait_dscnt 0x0
	v_add_f64_e32 v[10:11], v[10:11], v[12:13]
.LBB21_20:
	s_or_b32 exec_lo, exec_lo, s8
.LBB21_21:
	s_delay_alu instid0(SALU_CYCLE_1)
	s_or_b32 exec_lo, exec_lo, s7
	v_cmp_lt_u32_e64 s6, 15, v0
	v_add_nc_u32_e32 v19, 0xffffff80, v1
	s_barrier_signal -1
	s_barrier_wait -1
	ds_store_b64 v14, v[10:11]
	s_wait_dscnt 0x0
	s_barrier_signal -1
	s_barrier_wait -1
	s_and_saveexec_b32 s8, s6
	s_cbranch_execz .LBB21_25
; %bb.22:
	ds_load_b64 v[12:13], v19
	s_mov_b32 s9, exec_lo
	s_wait_dscnt 0x0
	v_cmpx_eq_u64_e64 v[8:9], v[12:13]
	s_cbranch_execz .LBB21_24
; %bb.23:
	v_add_nc_u32_e32 v12, 0xffffff80, v14
	ds_load_b64 v[12:13], v12
	s_wait_dscnt 0x0
	v_add_f64_e32 v[10:11], v[10:11], v[12:13]
.LBB21_24:
	s_or_b32 exec_lo, exec_lo, s9
.LBB21_25:
	s_delay_alu instid0(SALU_CYCLE_1)
	s_or_b32 exec_lo, exec_lo, s8
	v_cmp_lt_u32_e64 s7, 31, v0
	v_add_nc_u32_e32 v20, 0xffffff00, v1
	s_barrier_signal -1
	s_barrier_wait -1
	ds_store_b64 v14, v[10:11]
	s_wait_dscnt 0x0
	s_barrier_signal -1
	s_barrier_wait -1
	s_and_saveexec_b32 s9, s7
	s_cbranch_execz .LBB21_29
; %bb.26:
	ds_load_b64 v[12:13], v20
	s_mov_b32 s10, exec_lo
	s_wait_dscnt 0x0
	v_cmpx_eq_u64_e64 v[8:9], v[12:13]
	s_cbranch_execz .LBB21_28
; %bb.27:
	v_add_nc_u32_e32 v12, 0xffffff00, v14
	ds_load_b64 v[12:13], v12
	s_wait_dscnt 0x0
	v_add_f64_e32 v[10:11], v[10:11], v[12:13]
.LBB21_28:
	s_or_b32 exec_lo, exec_lo, s10
.LBB21_29:
	;; [unrolled: 26-line block ×4, first 2 shown]
	s_delay_alu instid0(SALU_CYCLE_1)
	s_or_b32 exec_lo, exec_lo, s11
	s_load_b64 s[22:23], s[0:1], 0x30
	s_wait_xcnt 0x0
	v_cmp_gt_u32_e64 s0, 0xff, v0
	s_barrier_signal -1
	s_barrier_wait -1
	ds_store_b64 v14, v[10:11]
	s_wait_dscnt 0x0
	s_barrier_signal -1
	s_barrier_wait -1
	s_and_saveexec_b32 s11, s0
	s_cbranch_execz .LBB21_40
; %bb.38:
	ds_load_b64 v[12:13], v1 offset:8
	v_cmp_lt_i64_e64 s10, -1, v[8:9]
	s_wait_dscnt 0x0
	v_cmp_ne_u64_e64 s1, v[8:9], v[12:13]
	s_and_b32 s1, s10, s1
	s_delay_alu instid0(SALU_CYCLE_1)
	s_and_b32 exec_lo, exec_lo, s1
	s_cbranch_execz .LBB21_40
; %bb.39:
	v_mul_f64_e32 v[10:11], v[2:3], v[10:11]
	s_wait_kmcnt 0x0
	v_lshl_add_u64 v[8:9], v[8:9], 3, s[22:23]
	global_atomic_add_f64 v[8:9], v[10:11], off scope:SCOPE_DEV
.LBB21_40:
	s_wait_xcnt 0x0
	s_or_b32 exec_lo, exec_lo, s11
	v_add_nc_u64_e32 v[8:9], 0x100, v[6:7]
	v_mov_b64_e32 v[6:7], -1
	s_delay_alu instid0(VALU_DEP_2)
	v_cmp_gt_i64_e64 s1, s[20:21], v[8:9]
	v_mov_b64_e32 v[8:9], 0
	s_and_saveexec_b32 s10, s1
	s_cbranch_execz .LBB21_42
; %bb.41:
	s_wait_kmcnt 0x0
	v_add_nc_u64_e32 v[6:7], s[14:15], v[4:5]
	v_add_nc_u64_e32 v[8:9], s[16:17], v[4:5]
	;; [unrolled: 1-line block ×3, first 2 shown]
	global_load_b64 v[6:7], v[6:7], off offset:2048 th:TH_LOAD_NT
	s_wait_loadcnt 0x0
	v_sub_nc_u64_e64 v[6:7], v[6:7], s[24:25]
	s_delay_alu instid0(VALU_DEP_1)
	v_lshl_add_u64 v[6:7], v[6:7], 3, s[18:19]
	global_load_b64 v[10:11], v[8:9], off offset:2048 th:TH_LOAD_NT
	global_load_b64 v[12:13], v[6:7], off
	global_load_b64 v[4:5], v[4:5], off offset:2048 th:TH_LOAD_NT
	s_wait_loadcnt 0x1
	s_wait_xcnt 0x2
	v_mul_f64_e32 v[8:9], v[10:11], v[12:13]
	s_wait_loadcnt 0x0
	s_wait_xcnt 0x1
	v_sub_nc_u64_e64 v[6:7], v[4:5], s[24:25]
.LBB21_42:
	s_wait_xcnt 0x0
	s_or_b32 exec_lo, exec_lo, s10
	s_and_saveexec_b32 s1, vcc_lo
	s_cbranch_execz .LBB21_53
; %bb.43:
	v_mov_b32_e32 v4, 0
	s_mov_b32 s10, exec_lo
	ds_load_b64 v[4:5], v4 offset:2040
	s_wait_dscnt 0x0
	v_cmpx_ne_u64_e64 v[6:7], v[4:5]
	s_xor_b32 s10, exec_lo, s10
	s_cbranch_execz .LBB21_50
; %bb.44:
	v_cmp_gt_i64_e32 vcc_lo, 0, v[4:5]
	s_cbranch_vccnz .LBB21_50
; %bb.45:
	v_mov_b32_e32 v10, 0
	s_mov_b32 s11, exec_lo
	ds_load_b64 v[10:11], v10 offset:4088
	s_wait_dscnt 0x0
	v_mul_f64_e32 v[12:13], v[2:3], v[10:11]
	v_mov_b64_e32 v[10:11], 0x8000000000000000
.LBB21_46:                              ; =>This Inner Loop Header: Depth=1
	s_wait_kmcnt 0x0
	s_ctz_i32_b32 s14, s11
	s_delay_alu instid0(VALU_DEP_2) | instid1(SALU_CYCLE_1)
	v_readlane_b32 s13, v13, s14
	s_delay_alu instid0(VALU_DEP_3) | instskip(NEXT) | instid1(VALU_DEP_1)
	v_readlane_b32 s12, v12, s14
	v_add_f64_e32 v[10:11], s[12:13], v[10:11]
	s_lshl_b32 s12, 1, s14
	s_delay_alu instid0(SALU_CYCLE_1) | instskip(NEXT) | instid1(SALU_CYCLE_1)
	s_and_not1_b32 s11, s11, s12
	s_cmp_lg_u32 s11, 0
	s_cbranch_scc1 .LBB21_46
; %bb.47:
	v_mbcnt_lo_u32_b32 v12, exec_lo, 0
	s_mov_b32 s11, exec_lo
	s_delay_alu instid0(VALU_DEP_1)
	v_cmpx_eq_u32_e32 0, v12
	s_xor_b32 s11, exec_lo, s11
	s_cbranch_execz .LBB21_49
; %bb.48:
	v_lshlrev_b64_e32 v[4:5], 3, v[4:5]
	s_delay_alu instid0(VALU_DEP_1)
	v_add_nc_u64_e32 v[4:5], s[22:23], v[4:5]
	global_atomic_add_f64 v[4:5], v[10:11], off scope:SCOPE_DEV
.LBB21_49:
	s_wait_xcnt 0x0
	s_or_b32 exec_lo, exec_lo, s11
.LBB21_50:
	s_and_not1_saveexec_b32 s10, s10
	s_cbranch_execz .LBB21_52
; %bb.51:
	v_mov_b32_e32 v4, 0
	ds_load_b64 v[4:5], v4 offset:4088
	s_wait_dscnt 0x0
	v_add_f64_e32 v[8:9], v[8:9], v[4:5]
.LBB21_52:
	s_or_b32 exec_lo, exec_lo, s10
.LBB21_53:
	s_delay_alu instid0(SALU_CYCLE_1)
	s_or_b32 exec_lo, exec_lo, s1
	s_wait_storecnt 0x0
	s_barrier_signal -1
	s_barrier_wait -1
	ds_store_b64 v1, v[6:7]
	ds_store_b64 v14, v[8:9]
	s_wait_dscnt 0x0
	s_barrier_signal -1
	s_barrier_wait -1
	s_and_saveexec_b32 s1, s2
	s_cbranch_execz .LBB21_57
; %bb.54:
	ds_load_b64 v[4:5], v15
	s_mov_b32 s2, exec_lo
	s_wait_dscnt 0x0
	v_cmpx_eq_u64_e64 v[6:7], v[4:5]
	s_cbranch_execz .LBB21_56
; %bb.55:
	v_add_nc_u32_e32 v4, -8, v14
	ds_load_b64 v[4:5], v4
	s_wait_dscnt 0x0
	v_add_f64_e32 v[8:9], v[8:9], v[4:5]
.LBB21_56:
	s_or_b32 exec_lo, exec_lo, s2
.LBB21_57:
	s_delay_alu instid0(SALU_CYCLE_1)
	s_or_b32 exec_lo, exec_lo, s1
	s_barrier_signal -1
	s_barrier_wait -1
	ds_store_b64 v14, v[8:9]
	s_wait_dscnt 0x0
	s_barrier_signal -1
	s_barrier_wait -1
	s_and_saveexec_b32 s1, s3
	s_cbranch_execz .LBB21_61
; %bb.58:
	ds_load_b64 v[4:5], v16
	s_mov_b32 s2, exec_lo
	s_wait_dscnt 0x0
	v_cmpx_eq_u64_e64 v[6:7], v[4:5]
	s_cbranch_execz .LBB21_60
; %bb.59:
	v_add_nc_u32_e32 v4, -16, v14
	ds_load_b64 v[4:5], v4
	s_wait_dscnt 0x0
	v_add_f64_e32 v[8:9], v[8:9], v[4:5]
.LBB21_60:
	s_or_b32 exec_lo, exec_lo, s2
.LBB21_61:
	s_delay_alu instid0(SALU_CYCLE_1)
	s_or_b32 exec_lo, exec_lo, s1
	s_barrier_signal -1
	s_barrier_wait -1
	ds_store_b64 v14, v[8:9]
	s_wait_dscnt 0x0
	s_barrier_signal -1
	s_barrier_wait -1
	s_and_saveexec_b32 s1, s4
	s_cbranch_execz .LBB21_65
; %bb.62:
	ds_load_b64 v[4:5], v17
	s_mov_b32 s2, exec_lo
	s_wait_dscnt 0x0
	v_cmpx_eq_u64_e64 v[6:7], v[4:5]
	s_cbranch_execz .LBB21_64
; %bb.63:
	v_subrev_nc_u32_e32 v4, 32, v14
	ds_load_b64 v[4:5], v4
	s_wait_dscnt 0x0
	v_add_f64_e32 v[8:9], v[8:9], v[4:5]
.LBB21_64:
	s_or_b32 exec_lo, exec_lo, s2
.LBB21_65:
	s_delay_alu instid0(SALU_CYCLE_1)
	s_or_b32 exec_lo, exec_lo, s1
	s_barrier_signal -1
	s_barrier_wait -1
	ds_store_b64 v14, v[8:9]
	s_wait_dscnt 0x0
	s_barrier_signal -1
	s_barrier_wait -1
	s_and_saveexec_b32 s1, s5
	s_cbranch_execz .LBB21_69
; %bb.66:
	ds_load_b64 v[4:5], v18
	s_mov_b32 s2, exec_lo
	s_wait_dscnt 0x0
	v_cmpx_eq_u64_e64 v[6:7], v[4:5]
	s_cbranch_execz .LBB21_68
; %bb.67:
	v_subrev_nc_u32_e32 v4, 64, v14
	ds_load_b64 v[4:5], v4
	s_wait_dscnt 0x0
	v_add_f64_e32 v[8:9], v[8:9], v[4:5]
.LBB21_68:
	s_or_b32 exec_lo, exec_lo, s2
.LBB21_69:
	s_delay_alu instid0(SALU_CYCLE_1)
	s_or_b32 exec_lo, exec_lo, s1
	s_barrier_signal -1
	s_barrier_wait -1
	ds_store_b64 v14, v[8:9]
	s_wait_dscnt 0x0
	s_barrier_signal -1
	s_barrier_wait -1
	s_and_saveexec_b32 s1, s6
	s_cbranch_execz .LBB21_73
; %bb.70:
	ds_load_b64 v[4:5], v19
	s_mov_b32 s2, exec_lo
	s_wait_dscnt 0x0
	v_cmpx_eq_u64_e64 v[6:7], v[4:5]
	s_cbranch_execz .LBB21_72
; %bb.71:
	v_add_nc_u32_e32 v4, 0xffffff80, v14
	ds_load_b64 v[4:5], v4
	s_wait_dscnt 0x0
	v_add_f64_e32 v[8:9], v[8:9], v[4:5]
.LBB21_72:
	s_or_b32 exec_lo, exec_lo, s2
.LBB21_73:
	s_delay_alu instid0(SALU_CYCLE_1)
	s_or_b32 exec_lo, exec_lo, s1
	s_barrier_signal -1
	s_barrier_wait -1
	ds_store_b64 v14, v[8:9]
	s_wait_dscnt 0x0
	s_barrier_signal -1
	s_barrier_wait -1
	s_and_saveexec_b32 s1, s7
	s_cbranch_execz .LBB21_77
; %bb.74:
	ds_load_b64 v[4:5], v20
	s_mov_b32 s2, exec_lo
	s_wait_dscnt 0x0
	v_cmpx_eq_u64_e64 v[6:7], v[4:5]
	s_cbranch_execz .LBB21_76
; %bb.75:
	v_add_nc_u32_e32 v4, 0xffffff00, v14
	ds_load_b64 v[4:5], v4
	s_wait_dscnt 0x0
	v_add_f64_e32 v[8:9], v[8:9], v[4:5]
.LBB21_76:
	s_or_b32 exec_lo, exec_lo, s2
.LBB21_77:
	;; [unrolled: 24-line block ×4, first 2 shown]
	s_delay_alu instid0(SALU_CYCLE_1)
	s_or_b32 exec_lo, exec_lo, s1
	s_barrier_signal -1
	s_barrier_wait -1
	ds_store_b64 v14, v[8:9]
	s_wait_dscnt 0x0
	s_barrier_signal -1
	s_barrier_wait -1
	s_and_saveexec_b32 s1, s0
	s_cbranch_execz .LBB21_88
; %bb.86:
	ds_load_b64 v[4:5], v1 offset:8
	v_cmp_lt_i64_e64 s0, -1, v[6:7]
	s_wait_dscnt 0x0
	v_cmp_ne_u64_e32 vcc_lo, v[6:7], v[4:5]
	s_and_b32 s0, s0, vcc_lo
	s_delay_alu instid0(SALU_CYCLE_1)
	s_and_b32 exec_lo, exec_lo, s0
	s_cbranch_execz .LBB21_88
; %bb.87:
	v_mul_f64_e32 v[4:5], v[2:3], v[8:9]
	s_wait_kmcnt 0x0
	v_lshl_add_u64 v[10:11], v[6:7], 3, s[22:23]
	global_atomic_add_f64 v[10:11], v[4:5], off scope:SCOPE_DEV
.LBB21_88:
	s_wait_xcnt 0x0
	s_or_b32 exec_lo, exec_lo, s1
	v_cmp_lt_i64_e32 vcc_lo, -1, v[6:7]
	v_cmp_eq_u32_e64 s0, 0xff, v0
	s_and_b32 s0, s0, vcc_lo
	s_delay_alu instid0(SALU_CYCLE_1)
	s_and_b32 exec_lo, exec_lo, s0
	s_cbranch_execz .LBB21_90
; %bb.89:
	v_mul_f64_e32 v[0:1], v[2:3], v[8:9]
	s_wait_kmcnt 0x0
	v_lshl_add_u64 v[2:3], v[6:7], 3, s[22:23]
	global_atomic_add_f64 v[2:3], v[0:1], off scope:SCOPE_DEV
.LBB21_90:
	s_endpgm
	.section	.rodata,"a",@progbits
	.p2align	6, 0x0
	.amdhsa_kernel _ZN9rocsparseL19coomvn_atomic_loopsILj256ELj2ElddddEEvlNS_24const_host_device_scalarIT5_EEPKT1_S6_PKT2_PKT3_PT4_21rocsparse_index_base_b
		.amdhsa_group_segment_fixed_size 4096
		.amdhsa_private_segment_fixed_size 0
		.amdhsa_kernarg_size 64
		.amdhsa_user_sgpr_count 2
		.amdhsa_user_sgpr_dispatch_ptr 0
		.amdhsa_user_sgpr_queue_ptr 0
		.amdhsa_user_sgpr_kernarg_segment_ptr 1
		.amdhsa_user_sgpr_dispatch_id 0
		.amdhsa_user_sgpr_kernarg_preload_length 0
		.amdhsa_user_sgpr_kernarg_preload_offset 0
		.amdhsa_user_sgpr_private_segment_size 0
		.amdhsa_wavefront_size32 1
		.amdhsa_uses_dynamic_stack 0
		.amdhsa_enable_private_segment 0
		.amdhsa_system_sgpr_workgroup_id_x 1
		.amdhsa_system_sgpr_workgroup_id_y 0
		.amdhsa_system_sgpr_workgroup_id_z 0
		.amdhsa_system_sgpr_workgroup_info 0
		.amdhsa_system_vgpr_workitem_id 0
		.amdhsa_next_free_vgpr 23
		.amdhsa_next_free_sgpr 26
		.amdhsa_named_barrier_count 0
		.amdhsa_reserve_vcc 1
		.amdhsa_float_round_mode_32 0
		.amdhsa_float_round_mode_16_64 0
		.amdhsa_float_denorm_mode_32 3
		.amdhsa_float_denorm_mode_16_64 3
		.amdhsa_fp16_overflow 0
		.amdhsa_memory_ordered 1
		.amdhsa_forward_progress 1
		.amdhsa_inst_pref_size 22
		.amdhsa_round_robin_scheduling 0
		.amdhsa_exception_fp_ieee_invalid_op 0
		.amdhsa_exception_fp_denorm_src 0
		.amdhsa_exception_fp_ieee_div_zero 0
		.amdhsa_exception_fp_ieee_overflow 0
		.amdhsa_exception_fp_ieee_underflow 0
		.amdhsa_exception_fp_ieee_inexact 0
		.amdhsa_exception_int_div_zero 0
	.end_amdhsa_kernel
	.section	.text._ZN9rocsparseL19coomvn_atomic_loopsILj256ELj2ElddddEEvlNS_24const_host_device_scalarIT5_EEPKT1_S6_PKT2_PKT3_PT4_21rocsparse_index_base_b,"axG",@progbits,_ZN9rocsparseL19coomvn_atomic_loopsILj256ELj2ElddddEEvlNS_24const_host_device_scalarIT5_EEPKT1_S6_PKT2_PKT3_PT4_21rocsparse_index_base_b,comdat
.Lfunc_end21:
	.size	_ZN9rocsparseL19coomvn_atomic_loopsILj256ELj2ElddddEEvlNS_24const_host_device_scalarIT5_EEPKT1_S6_PKT2_PKT3_PT4_21rocsparse_index_base_b, .Lfunc_end21-_ZN9rocsparseL19coomvn_atomic_loopsILj256ELj2ElddddEEvlNS_24const_host_device_scalarIT5_EEPKT1_S6_PKT2_PKT3_PT4_21rocsparse_index_base_b
                                        ; -- End function
	.set _ZN9rocsparseL19coomvn_atomic_loopsILj256ELj2ElddddEEvlNS_24const_host_device_scalarIT5_EEPKT1_S6_PKT2_PKT3_PT4_21rocsparse_index_base_b.num_vgpr, 23
	.set _ZN9rocsparseL19coomvn_atomic_loopsILj256ELj2ElddddEEvlNS_24const_host_device_scalarIT5_EEPKT1_S6_PKT2_PKT3_PT4_21rocsparse_index_base_b.num_agpr, 0
	.set _ZN9rocsparseL19coomvn_atomic_loopsILj256ELj2ElddddEEvlNS_24const_host_device_scalarIT5_EEPKT1_S6_PKT2_PKT3_PT4_21rocsparse_index_base_b.numbered_sgpr, 26
	.set _ZN9rocsparseL19coomvn_atomic_loopsILj256ELj2ElddddEEvlNS_24const_host_device_scalarIT5_EEPKT1_S6_PKT2_PKT3_PT4_21rocsparse_index_base_b.num_named_barrier, 0
	.set _ZN9rocsparseL19coomvn_atomic_loopsILj256ELj2ElddddEEvlNS_24const_host_device_scalarIT5_EEPKT1_S6_PKT2_PKT3_PT4_21rocsparse_index_base_b.private_seg_size, 0
	.set _ZN9rocsparseL19coomvn_atomic_loopsILj256ELj2ElddddEEvlNS_24const_host_device_scalarIT5_EEPKT1_S6_PKT2_PKT3_PT4_21rocsparse_index_base_b.uses_vcc, 1
	.set _ZN9rocsparseL19coomvn_atomic_loopsILj256ELj2ElddddEEvlNS_24const_host_device_scalarIT5_EEPKT1_S6_PKT2_PKT3_PT4_21rocsparse_index_base_b.uses_flat_scratch, 0
	.set _ZN9rocsparseL19coomvn_atomic_loopsILj256ELj2ElddddEEvlNS_24const_host_device_scalarIT5_EEPKT1_S6_PKT2_PKT3_PT4_21rocsparse_index_base_b.has_dyn_sized_stack, 0
	.set _ZN9rocsparseL19coomvn_atomic_loopsILj256ELj2ElddddEEvlNS_24const_host_device_scalarIT5_EEPKT1_S6_PKT2_PKT3_PT4_21rocsparse_index_base_b.has_recursion, 0
	.set _ZN9rocsparseL19coomvn_atomic_loopsILj256ELj2ElddddEEvlNS_24const_host_device_scalarIT5_EEPKT1_S6_PKT2_PKT3_PT4_21rocsparse_index_base_b.has_indirect_call, 0
	.section	.AMDGPU.csdata,"",@progbits
; Kernel info:
; codeLenInByte = 2720
; TotalNumSgprs: 28
; NumVgprs: 23
; ScratchSize: 0
; MemoryBound: 1
; FloatMode: 240
; IeeeMode: 1
; LDSByteSize: 4096 bytes/workgroup (compile time only)
; SGPRBlocks: 0
; VGPRBlocks: 1
; NumSGPRsForWavesPerEU: 28
; NumVGPRsForWavesPerEU: 23
; NamedBarCnt: 0
; Occupancy: 16
; WaveLimiterHint : 1
; COMPUTE_PGM_RSRC2:SCRATCH_EN: 0
; COMPUTE_PGM_RSRC2:USER_SGPR: 2
; COMPUTE_PGM_RSRC2:TRAP_HANDLER: 0
; COMPUTE_PGM_RSRC2:TGID_X_EN: 1
; COMPUTE_PGM_RSRC2:TGID_Y_EN: 0
; COMPUTE_PGM_RSRC2:TGID_Z_EN: 0
; COMPUTE_PGM_RSRC2:TIDIG_COMP_CNT: 0
	.section	.text._ZN9rocsparseL22coomvn_segmented_loopsILj256Ei21rocsparse_complex_numIfES2_S2_S2_EEvlT0_NS_24const_host_device_scalarIT4_EEPKS3_S8_PKT1_PKT2_PT3_PS3_PS5_21rocsparse_index_base_b,"axG",@progbits,_ZN9rocsparseL22coomvn_segmented_loopsILj256Ei21rocsparse_complex_numIfES2_S2_S2_EEvlT0_NS_24const_host_device_scalarIT4_EEPKS3_S8_PKT1_PKT2_PT3_PS3_PS5_21rocsparse_index_base_b,comdat
	.globl	_ZN9rocsparseL22coomvn_segmented_loopsILj256Ei21rocsparse_complex_numIfES2_S2_S2_EEvlT0_NS_24const_host_device_scalarIT4_EEPKS3_S8_PKT1_PKT2_PT3_PS3_PS5_21rocsparse_index_base_b ; -- Begin function _ZN9rocsparseL22coomvn_segmented_loopsILj256Ei21rocsparse_complex_numIfES2_S2_S2_EEvlT0_NS_24const_host_device_scalarIT4_EEPKS3_S8_PKT1_PKT2_PT3_PS3_PS5_21rocsparse_index_base_b
	.p2align	8
	.type	_ZN9rocsparseL22coomvn_segmented_loopsILj256Ei21rocsparse_complex_numIfES2_S2_S2_EEvlT0_NS_24const_host_device_scalarIT4_EEPKS3_S8_PKT1_PKT2_PT3_PS3_PS5_21rocsparse_index_base_b,@function
_ZN9rocsparseL22coomvn_segmented_loopsILj256Ei21rocsparse_complex_numIfES2_S2_S2_EEvlT0_NS_24const_host_device_scalarIT4_EEPKS3_S8_PKT1_PKT2_PT3_PS3_PS5_21rocsparse_index_base_b: ; @_ZN9rocsparseL22coomvn_segmented_loopsILj256Ei21rocsparse_complex_numIfES2_S2_S2_EEvlT0_NS_24const_host_device_scalarIT4_EEPKS3_S8_PKT1_PKT2_PT3_PS3_PS5_21rocsparse_index_base_b
; %bb.0:
	s_clause 0x1
	s_load_b64 s[28:29], s[0:1], 0x50
	s_load_b64 s[2:3], s[0:1], 0x10
	v_mov_b32_e32 v7, 0
	s_add_nc_u64 s[4:5], s[0:1], 16
	s_wait_kmcnt 0x0
	s_bitcmp1_b32 s29, 0
	s_cselect_b32 s3, s5, s3
	s_cselect_b32 s2, s4, s2
	flat_load_b64 v[2:3], v7, s[2:3]
	s_wait_loadcnt_dscnt 0x0
	v_cmp_neq_f32_e32 vcc_lo, 0, v2
	v_cmp_neq_f32_e64 s2, 0, v3
	s_or_b32 s2, vcc_lo, s2
	s_delay_alu instid0(SALU_CYCLE_1)
	s_and_saveexec_b32 s3, s2
	s_cbranch_execz .LBB22_87
; %bb.1:
	s_clause 0x1
	s_load_b96 s[24:26], s[0:1], 0x0
	s_load_b256 s[16:23], s[0:1], 0x18
	s_bfe_u32 s2, ttmp6, 0x4000c
	s_and_b32 s3, ttmp6, 15
	s_add_co_i32 s2, s2, 1
	s_getreg_b32 s4, hwreg(HW_REG_IB_STS2, 6, 4)
	s_mul_i32 s2, ttmp9, s2
	v_mov_b64_e32 v[4:5], 0
	s_add_co_i32 s3, s3, s2
	s_cmp_eq_u32 s4, 0
	v_mov_b32_e32 v18, -1
	s_cselect_b32 s27, ttmp9, s3
	s_wait_kmcnt 0x0
	s_mul_i32 s2, s27, s26
	s_delay_alu instid0(SALU_CYCLE_1) | instskip(SKIP_1) | instid1(VALU_DEP_1)
	v_lshl_or_b32 v6, s2, 8, v0
	s_mov_b32 s2, exec_lo
	v_lshl_add_u64 v[10:11], v[6:7], 3, s[20:21]
	v_cmpx_gt_i64_e64 s[24:25], v[6:7]
	s_cbranch_execz .LBB22_3
; %bb.2:
	v_lshlrev_b64_e32 v[4:5], 2, v[6:7]
	s_ashr_i32 s29, s28, 31
	s_delay_alu instid0(SALU_CYCLE_1) | instskip(NEXT) | instid1(VALU_DEP_1)
	s_lshl_b64 s[4:5], s[28:29], 3
	v_add_nc_u64_e32 v[8:9], s[18:19], v[4:5]
	v_add_nc_u64_e32 v[4:5], s[16:17], v[4:5]
	global_load_b32 v8, v[8:9], off th:TH_LOAD_NT
	s_wait_loadcnt 0x0
	v_ashrrev_i32_e32 v9, 31, v8
	s_delay_alu instid0(VALU_DEP_1) | instskip(NEXT) | instid1(VALU_DEP_1)
	v_lshl_add_u64 v[8:9], v[8:9], 3, s[22:23]
	v_sub_nc_u64_e64 v[8:9], v[8:9], s[4:5]
	global_load_b64 v[12:13], v[8:9], off
	global_load_b64 v[14:15], v[10:11], off th:TH_LOAD_NT
	global_load_b32 v1, v[4:5], off th:TH_LOAD_NT
	s_wait_loadcnt 0x1
	s_wait_xcnt 0x0
	v_pk_mul_f32 v[4:5], v[12:13], v[14:15] op_sel:[1,1] op_sel_hi:[1,0] neg_lo:[0,1]
	s_wait_loadcnt 0x0
	v_subrev_nc_u32_e32 v18, s28, v1
	s_delay_alu instid0(VALU_DEP_2)
	v_pk_fma_f32 v[4:5], v[14:15], v[12:13], v[4:5] op_sel_hi:[1,0,1]
.LBB22_3:
	s_or_b32 exec_lo, exec_lo, s2
	v_dual_lshlrev_b32 v8, 2, v0 :: v_dual_lshlrev_b32 v1, 3, v0
	v_cmp_eq_u32_e64 s2, 0, v0
	v_cmp_ne_u32_e64 s3, 0, v0
	ds_store_b32 v8, v18 offset:2048
	ds_store_b64 v1, v[4:5]
	v_or_b32_e32 v16, 0x800, v8
	s_wait_dscnt 0x0
	s_barrier_signal -1
	s_barrier_wait -1
	s_delay_alu instid0(VALU_DEP_1)
	v_add_nc_u32_e32 v17, -4, v16
	s_and_saveexec_b32 s4, s3
	s_cbranch_execz .LBB22_7
; %bb.4:
	ds_load_b32 v8, v17
	s_mov_b32 s5, exec_lo
	s_wait_dscnt 0x0
	v_cmpx_eq_u32_e64 v18, v8
	s_cbranch_execz .LBB22_6
; %bb.5:
	v_add_nc_u32_e32 v8, -8, v1
	ds_load_b64 v[8:9], v8
	s_wait_dscnt 0x0
	v_pk_add_f32 v[4:5], v[4:5], v[8:9]
.LBB22_6:
	s_or_b32 exec_lo, exec_lo, s5
.LBB22_7:
	s_delay_alu instid0(SALU_CYCLE_1)
	s_or_b32 exec_lo, exec_lo, s4
	v_cmp_lt_u32_e64 s4, 1, v0
	v_add_nc_u32_e32 v19, -8, v16
	s_barrier_signal -1
	s_barrier_wait -1
	ds_store_b64 v1, v[4:5]
	s_wait_dscnt 0x0
	s_barrier_signal -1
	s_barrier_wait -1
	s_and_saveexec_b32 s5, s4
	s_cbranch_execz .LBB22_11
; %bb.8:
	ds_load_b32 v8, v19
	s_mov_b32 s6, exec_lo
	s_wait_dscnt 0x0
	v_cmpx_eq_u32_e64 v18, v8
	s_cbranch_execz .LBB22_10
; %bb.9:
	v_add_nc_u32_e32 v8, -16, v1
	ds_load_b64 v[8:9], v8
	s_wait_dscnt 0x0
	v_pk_add_f32 v[4:5], v[4:5], v[8:9]
.LBB22_10:
	s_or_b32 exec_lo, exec_lo, s6
.LBB22_11:
	s_delay_alu instid0(SALU_CYCLE_1)
	s_or_b32 exec_lo, exec_lo, s5
	v_cmp_lt_u32_e64 s5, 3, v0
	v_add_nc_u32_e32 v20, -16, v16
	s_barrier_signal -1
	s_barrier_wait -1
	ds_store_b64 v1, v[4:5]
	s_wait_dscnt 0x0
	s_barrier_signal -1
	s_barrier_wait -1
	s_and_saveexec_b32 s6, s5
	s_cbranch_execz .LBB22_15
; %bb.12:
	ds_load_b32 v8, v20
	s_mov_b32 s7, exec_lo
	s_wait_dscnt 0x0
	v_cmpx_eq_u32_e64 v18, v8
	s_cbranch_execz .LBB22_14
; %bb.13:
	v_subrev_nc_u32_e32 v8, 32, v1
	ds_load_b64 v[8:9], v8
	s_wait_dscnt 0x0
	v_pk_add_f32 v[4:5], v[4:5], v[8:9]
.LBB22_14:
	s_or_b32 exec_lo, exec_lo, s7
.LBB22_15:
	s_delay_alu instid0(SALU_CYCLE_1)
	s_or_b32 exec_lo, exec_lo, s6
	v_cmp_lt_u32_e64 s6, 7, v0
	v_subrev_nc_u32_e32 v21, 32, v16
	s_barrier_signal -1
	s_barrier_wait -1
	ds_store_b64 v1, v[4:5]
	s_wait_dscnt 0x0
	s_barrier_signal -1
	s_barrier_wait -1
	s_and_saveexec_b32 s7, s6
	s_cbranch_execz .LBB22_19
; %bb.16:
	ds_load_b32 v8, v21
	s_mov_b32 s8, exec_lo
	s_wait_dscnt 0x0
	v_cmpx_eq_u32_e64 v18, v8
	s_cbranch_execz .LBB22_18
; %bb.17:
	v_subrev_nc_u32_e32 v8, 64, v1
	ds_load_b64 v[8:9], v8
	s_wait_dscnt 0x0
	v_pk_add_f32 v[4:5], v[4:5], v[8:9]
.LBB22_18:
	s_or_b32 exec_lo, exec_lo, s8
.LBB22_19:
	s_delay_alu instid0(SALU_CYCLE_1)
	s_or_b32 exec_lo, exec_lo, s7
	v_cmp_lt_u32_e64 s7, 15, v0
	v_subrev_nc_u32_e32 v22, 64, v16
	s_barrier_signal -1
	s_barrier_wait -1
	ds_store_b64 v1, v[4:5]
	s_wait_dscnt 0x0
	s_barrier_signal -1
	s_barrier_wait -1
	s_and_saveexec_b32 s8, s7
	s_cbranch_execz .LBB22_23
; %bb.20:
	ds_load_b32 v8, v22
	s_mov_b32 s9, exec_lo
	s_wait_dscnt 0x0
	v_cmpx_eq_u32_e64 v18, v8
	s_cbranch_execz .LBB22_22
; %bb.21:
	v_add_nc_u32_e32 v8, 0xffffff80, v1
	ds_load_b64 v[8:9], v8
	s_wait_dscnt 0x0
	v_pk_add_f32 v[4:5], v[4:5], v[8:9]
.LBB22_22:
	s_or_b32 exec_lo, exec_lo, s9
.LBB22_23:
	s_delay_alu instid0(SALU_CYCLE_1)
	s_or_b32 exec_lo, exec_lo, s8
	v_cmp_lt_u32_e64 s8, 31, v0
	v_add_nc_u32_e32 v23, 0xffffff80, v16
	s_barrier_signal -1
	s_barrier_wait -1
	ds_store_b64 v1, v[4:5]
	s_wait_dscnt 0x0
	s_barrier_signal -1
	s_barrier_wait -1
	s_and_saveexec_b32 s9, s8
	s_cbranch_execz .LBB22_27
; %bb.24:
	ds_load_b32 v8, v23
	s_mov_b32 s10, exec_lo
	s_wait_dscnt 0x0
	v_cmpx_eq_u32_e64 v18, v8
	s_cbranch_execz .LBB22_26
; %bb.25:
	v_add_nc_u32_e32 v8, 0xffffff00, v1
	ds_load_b64 v[8:9], v8
	s_wait_dscnt 0x0
	v_pk_add_f32 v[4:5], v[4:5], v[8:9]
.LBB22_26:
	s_or_b32 exec_lo, exec_lo, s10
.LBB22_27:
	s_delay_alu instid0(SALU_CYCLE_1)
	s_or_b32 exec_lo, exec_lo, s9
	v_cmp_lt_u32_e64 s9, 63, v0
	v_add_nc_u32_e32 v24, 0xffffff00, v16
	s_barrier_signal -1
	s_barrier_wait -1
	ds_store_b64 v1, v[4:5]
	s_wait_dscnt 0x0
	s_barrier_signal -1
	s_barrier_wait -1
	s_and_saveexec_b32 s10, s9
	s_cbranch_execz .LBB22_31
; %bb.28:
	ds_load_b32 v8, v24
	s_mov_b32 s11, exec_lo
	s_wait_dscnt 0x0
	v_cmpx_eq_u32_e64 v18, v8
	s_cbranch_execz .LBB22_30
; %bb.29:
	v_add_nc_u32_e32 v8, 0xfffffe00, v1
	ds_load_b64 v[8:9], v8
	s_wait_dscnt 0x0
	v_pk_add_f32 v[4:5], v[4:5], v[8:9]
.LBB22_30:
	s_or_b32 exec_lo, exec_lo, s11
.LBB22_31:
	s_delay_alu instid0(SALU_CYCLE_1)
	s_or_b32 exec_lo, exec_lo, s10
	s_load_b64 s[20:21], s[0:1], 0x38
	v_cmp_lt_u32_e64 s10, 0x7f, v0
	v_add_nc_u32_e32 v25, 0xfffffe00, v16
	s_barrier_signal -1
	s_barrier_wait -1
	ds_store_b64 v1, v[4:5]
	s_wait_dscnt 0x0
	s_barrier_signal -1
	s_barrier_wait -1
	s_and_saveexec_b32 s11, s10
	s_cbranch_execz .LBB22_35
; %bb.32:
	ds_load_b32 v8, v25
	s_mov_b32 s12, exec_lo
	s_wait_dscnt 0x0
	v_cmpx_eq_u32_e64 v18, v8
	s_cbranch_execz .LBB22_34
; %bb.33:
	v_add_nc_u32_e32 v8, 0xfffffc00, v1
	ds_load_b64 v[8:9], v8
	s_wait_dscnt 0x0
	v_pk_add_f32 v[4:5], v[4:5], v[8:9]
.LBB22_34:
	s_or_b32 exec_lo, exec_lo, s12
.LBB22_35:
	s_delay_alu instid0(SALU_CYCLE_1)
	s_or_b32 exec_lo, exec_lo, s11
	v_cmp_gt_u32_e64 s11, 0xff, v0
	s_barrier_signal -1
	s_barrier_wait -1
	ds_store_b64 v1, v[4:5]
	s_wait_dscnt 0x0
	s_barrier_signal -1
	s_barrier_wait -1
	s_and_saveexec_b32 s13, s11
	s_cbranch_execz .LBB22_38
; %bb.36:
	ds_load_b32 v8, v16 offset:4
	v_cmp_lt_i32_e64 s12, -1, v18
	s_wait_dscnt 0x0
	v_cmp_ne_u32_e32 vcc_lo, v18, v8
	s_and_b32 s12, s12, vcc_lo
	s_delay_alu instid0(SALU_CYCLE_1)
	s_and_b32 exec_lo, exec_lo, s12
	s_cbranch_execz .LBB22_38
; %bb.37:
	s_wait_kmcnt 0x0
	global_load_b64 v[8:9], v18, s[20:21] scale_offset
	v_xor_b32_e32 v12, 0x80000000, v3
	v_mov_b32_e32 v13, v2
	s_wait_loadcnt 0x0
	v_pk_fma_f32 v[8:9], v[2:3], v[4:5], v[8:9] op_sel_hi:[1,0,1]
	s_delay_alu instid0(VALU_DEP_1)
	v_pk_fma_f32 v[8:9], v[12:13], v[4:5], v[8:9] op_sel:[0,1,0]
	global_store_b64 v18, v[8:9], s[20:21] scale_offset
.LBB22_38:
	s_wait_xcnt 0x0
	s_or_b32 exec_lo, exec_lo, s13
	s_load_b128 s[12:15], s[0:1], 0x40
	v_xor_b32_e32 v8, 0x80000000, v3
	s_cmp_lt_i32 s26, 2
	s_cbranch_scc1 .LBB22_85
; %bb.39:
	v_lshl_add_u64 v[4:5], v[6:7], 2, 0x400
	v_add_nc_u64_e32 v[10:11], 0x800, v[10:11]
	v_add_nc_u64_e32 v[6:7], 0x100, v[6:7]
	s_ashr_i32 s29, s28, 31
	v_dual_add_nc_u32 v26, -8, v1 :: v_dual_add_nc_u32 v27, -16, v1
	v_add_nc_u64_e32 v[12:13], s[18:19], v[4:5]
	v_add_nc_u64_e32 v[14:15], s[16:17], v[4:5]
	v_subrev_nc_u32_e32 v28, 32, v1
	v_subrev_nc_u32_e32 v29, 64, v1
	v_dual_mov_b32 v9, v2 :: v_dual_add_nc_u32 v30, 0xffffff80, v1
	v_dual_mov_b32 v34, 0 :: v_dual_add_nc_u32 v31, 0xffffff00, v1
	v_add_nc_u32_e32 v32, 0xfffffe00, v1
	v_add_nc_u32_e32 v33, 0xfffffc00, v1
	s_wait_xcnt 0x0
	s_lshl_b64 s[0:1], s[28:29], 3
	s_delay_alu instid0(SALU_CYCLE_1)
	s_sub_nc_u64 s[16:17], s[22:23], s[0:1]
	s_add_co_i32 s1, s26, -1
	s_branch .LBB22_41
.LBB22_40:                              ;   in Loop: Header=BB22_41 Depth=1
	s_wait_xcnt 0x0
	s_or_b32 exec_lo, exec_lo, s18
	v_add_nc_u64_e32 v[12:13], 0x400, v[12:13]
	v_add_nc_u64_e32 v[10:11], 0x800, v[10:11]
	;; [unrolled: 1-line block ×4, first 2 shown]
	s_add_co_i32 s1, s1, -1
	s_delay_alu instid0(SALU_CYCLE_1)
	s_cmp_eq_u32 s1, 0
	s_cbranch_scc1 .LBB22_85
.LBB22_41:                              ; =>This Inner Loop Header: Depth=1
	v_mov_b64_e32 v[4:5], 0
	v_mov_b32_e32 v18, -1
	s_mov_b32 s0, exec_lo
	v_cmpx_gt_i64_e64 s[24:25], v[6:7]
	s_cbranch_execz .LBB22_43
; %bb.42:                               ;   in Loop: Header=BB22_41 Depth=1
	global_load_b32 v18, v[12:13], off th:TH_LOAD_NT
	s_wait_loadcnt 0x0
	global_load_b64 v[4:5], v18, s[16:17] scale_offset
	global_load_b64 v[36:37], v[10:11], off th:TH_LOAD_NT
	global_load_b32 v35, v[14:15], off th:TH_LOAD_NT
	s_wait_loadcnt 0x1
	v_pk_mul_f32 v[38:39], v[4:5], v[36:37] op_sel:[1,1] op_sel_hi:[1,0] neg_lo:[0,1]
	s_wait_loadcnt 0x0
	s_wait_xcnt 0x2
	v_subrev_nc_u32_e32 v18, s28, v35
	s_delay_alu instid0(VALU_DEP_2)
	v_pk_fma_f32 v[4:5], v[36:37], v[4:5], v[38:39] op_sel_hi:[1,0,1]
.LBB22_43:                              ;   in Loop: Header=BB22_41 Depth=1
	s_wait_xcnt 0x0
	s_or_b32 exec_lo, exec_lo, s0
	s_and_saveexec_b32 s0, s2
	s_cbranch_execz .LBB22_50
; %bb.44:                               ;   in Loop: Header=BB22_41 Depth=1
	ds_load_b32 v35, v34 offset:3068
	s_mov_b32 s18, exec_lo
	s_wait_dscnt 0x0
	v_cmpx_ne_u32_e64 v18, v35
	s_xor_b32 s18, exec_lo, s18
	s_cbranch_execz .LBB22_47
; %bb.45:                               ;   in Loop: Header=BB22_41 Depth=1
	v_cmp_gt_i32_e32 vcc_lo, 0, v35
	s_cbranch_vccnz .LBB22_47
; %bb.46:                               ;   in Loop: Header=BB22_41 Depth=1
	s_wait_kmcnt 0x0
	global_load_b64 v[36:37], v35, s[20:21] scale_offset
	ds_load_b64 v[38:39], v34 offset:2040
	s_wait_loadcnt_dscnt 0x0
	v_pk_fma_f32 v[36:37], v[2:3], v[38:39], v[36:37] op_sel_hi:[1,0,1]
	s_delay_alu instid0(VALU_DEP_1)
	v_pk_fma_f32 v[36:37], v[8:9], v[38:39], v[36:37] op_sel:[0,1,0]
	global_store_b64 v35, v[36:37], s[20:21] scale_offset
.LBB22_47:                              ;   in Loop: Header=BB22_41 Depth=1
	s_wait_xcnt 0x0
	s_and_not1_saveexec_b32 s18, s18
	s_cbranch_execz .LBB22_49
; %bb.48:                               ;   in Loop: Header=BB22_41 Depth=1
	ds_load_b64 v[36:37], v34 offset:2040
	s_wait_dscnt 0x0
	v_pk_add_f32 v[4:5], v[4:5], v[36:37]
.LBB22_49:                              ;   in Loop: Header=BB22_41 Depth=1
	s_or_b32 exec_lo, exec_lo, s18
.LBB22_50:                              ;   in Loop: Header=BB22_41 Depth=1
	s_delay_alu instid0(SALU_CYCLE_1)
	s_or_b32 exec_lo, exec_lo, s0
	s_wait_storecnt 0x0
	s_barrier_signal -1
	s_barrier_wait -1
	ds_store_b32 v16, v18
	ds_store_b64 v1, v[4:5]
	s_wait_dscnt 0x0
	s_barrier_signal -1
	s_barrier_wait -1
	s_and_saveexec_b32 s0, s3
	s_cbranch_execz .LBB22_54
; %bb.51:                               ;   in Loop: Header=BB22_41 Depth=1
	ds_load_b32 v35, v17
	s_mov_b32 s18, exec_lo
	s_wait_dscnt 0x0
	v_cmpx_eq_u32_e64 v18, v35
	s_cbranch_execz .LBB22_53
; %bb.52:                               ;   in Loop: Header=BB22_41 Depth=1
	ds_load_b64 v[36:37], v26
	s_wait_dscnt 0x0
	v_pk_add_f32 v[4:5], v[4:5], v[36:37]
.LBB22_53:                              ;   in Loop: Header=BB22_41 Depth=1
	s_or_b32 exec_lo, exec_lo, s18
.LBB22_54:                              ;   in Loop: Header=BB22_41 Depth=1
	s_delay_alu instid0(SALU_CYCLE_1)
	s_or_b32 exec_lo, exec_lo, s0
	s_barrier_signal -1
	s_barrier_wait -1
	ds_store_b64 v1, v[4:5]
	s_wait_dscnt 0x0
	s_barrier_signal -1
	s_barrier_wait -1
	s_and_saveexec_b32 s0, s4
	s_cbranch_execz .LBB22_58
; %bb.55:                               ;   in Loop: Header=BB22_41 Depth=1
	ds_load_b32 v35, v19
	s_mov_b32 s18, exec_lo
	s_wait_dscnt 0x0
	v_cmpx_eq_u32_e64 v18, v35
	s_cbranch_execz .LBB22_57
; %bb.56:                               ;   in Loop: Header=BB22_41 Depth=1
	ds_load_b64 v[36:37], v27
	s_wait_dscnt 0x0
	v_pk_add_f32 v[4:5], v[4:5], v[36:37]
.LBB22_57:                              ;   in Loop: Header=BB22_41 Depth=1
	s_or_b32 exec_lo, exec_lo, s18
.LBB22_58:                              ;   in Loop: Header=BB22_41 Depth=1
	s_delay_alu instid0(SALU_CYCLE_1)
	s_or_b32 exec_lo, exec_lo, s0
	s_barrier_signal -1
	s_barrier_wait -1
	;; [unrolled: 23-line block ×8, first 2 shown]
	ds_store_b64 v1, v[4:5]
	s_wait_dscnt 0x0
	s_barrier_signal -1
	s_barrier_wait -1
	s_and_saveexec_b32 s18, s11
	s_cbranch_execz .LBB22_40
; %bb.83:                               ;   in Loop: Header=BB22_41 Depth=1
	ds_load_b32 v35, v16 offset:4
	v_cmp_lt_i32_e64 s0, -1, v18
	s_wait_dscnt 0x0
	v_cmp_ne_u32_e32 vcc_lo, v18, v35
	s_and_b32 s0, s0, vcc_lo
	s_delay_alu instid0(SALU_CYCLE_1)
	s_and_b32 exec_lo, exec_lo, s0
	s_cbranch_execz .LBB22_40
; %bb.84:                               ;   in Loop: Header=BB22_41 Depth=1
	s_wait_kmcnt 0x0
	global_load_b64 v[36:37], v18, s[20:21] scale_offset
	s_wait_loadcnt 0x0
	v_pk_fma_f32 v[36:37], v[2:3], v[4:5], v[36:37] op_sel_hi:[1,0,1]
	s_delay_alu instid0(VALU_DEP_1)
	v_pk_fma_f32 v[36:37], v[8:9], v[4:5], v[36:37] op_sel:[0,1,0]
	global_store_b64 v18, v[36:37], s[20:21] scale_offset
	s_branch .LBB22_40
.LBB22_85:
	v_cmp_eq_u32_e32 vcc_lo, 0xff, v0
	s_and_b32 exec_lo, exec_lo, vcc_lo
	s_cbranch_execz .LBB22_87
; %bb.86:
	v_dual_mov_b32 v9, v2 :: v_dual_mov_b32 v6, s27
	s_delay_alu instid0(VALU_DEP_1) | instskip(NEXT) | instid1(VALU_DEP_1)
	v_pk_mul_f32 v[0:1], v[4:5], v[8:9] op_sel:[1,0]
	v_pk_fma_f32 v[0:1], v[2:3], v[4:5], v[0:1] op_sel_hi:[1,0,1]
	s_wait_kmcnt 0x0
	s_clause 0x1
	global_store_b32 v6, v18, s[12:13] scale_offset th:TH_STORE_NT
	global_store_b64 v6, v[0:1], s[14:15] scale_offset th:TH_STORE_NT
.LBB22_87:
	s_endpgm
	.section	.rodata,"a",@progbits
	.p2align	6, 0x0
	.amdhsa_kernel _ZN9rocsparseL22coomvn_segmented_loopsILj256Ei21rocsparse_complex_numIfES2_S2_S2_EEvlT0_NS_24const_host_device_scalarIT4_EEPKS3_S8_PKT1_PKT2_PT3_PS3_PS5_21rocsparse_index_base_b
		.amdhsa_group_segment_fixed_size 3072
		.amdhsa_private_segment_fixed_size 0
		.amdhsa_kernarg_size 88
		.amdhsa_user_sgpr_count 2
		.amdhsa_user_sgpr_dispatch_ptr 0
		.amdhsa_user_sgpr_queue_ptr 0
		.amdhsa_user_sgpr_kernarg_segment_ptr 1
		.amdhsa_user_sgpr_dispatch_id 0
		.amdhsa_user_sgpr_kernarg_preload_length 0
		.amdhsa_user_sgpr_kernarg_preload_offset 0
		.amdhsa_user_sgpr_private_segment_size 0
		.amdhsa_wavefront_size32 1
		.amdhsa_uses_dynamic_stack 0
		.amdhsa_enable_private_segment 0
		.amdhsa_system_sgpr_workgroup_id_x 1
		.amdhsa_system_sgpr_workgroup_id_y 0
		.amdhsa_system_sgpr_workgroup_id_z 0
		.amdhsa_system_sgpr_workgroup_info 0
		.amdhsa_system_vgpr_workitem_id 0
		.amdhsa_next_free_vgpr 40
		.amdhsa_next_free_sgpr 30
		.amdhsa_named_barrier_count 0
		.amdhsa_reserve_vcc 1
		.amdhsa_float_round_mode_32 0
		.amdhsa_float_round_mode_16_64 0
		.amdhsa_float_denorm_mode_32 3
		.amdhsa_float_denorm_mode_16_64 3
		.amdhsa_fp16_overflow 0
		.amdhsa_memory_ordered 1
		.amdhsa_forward_progress 1
		.amdhsa_inst_pref_size 23
		.amdhsa_round_robin_scheduling 0
		.amdhsa_exception_fp_ieee_invalid_op 0
		.amdhsa_exception_fp_denorm_src 0
		.amdhsa_exception_fp_ieee_div_zero 0
		.amdhsa_exception_fp_ieee_overflow 0
		.amdhsa_exception_fp_ieee_underflow 0
		.amdhsa_exception_fp_ieee_inexact 0
		.amdhsa_exception_int_div_zero 0
	.end_amdhsa_kernel
	.section	.text._ZN9rocsparseL22coomvn_segmented_loopsILj256Ei21rocsparse_complex_numIfES2_S2_S2_EEvlT0_NS_24const_host_device_scalarIT4_EEPKS3_S8_PKT1_PKT2_PT3_PS3_PS5_21rocsparse_index_base_b,"axG",@progbits,_ZN9rocsparseL22coomvn_segmented_loopsILj256Ei21rocsparse_complex_numIfES2_S2_S2_EEvlT0_NS_24const_host_device_scalarIT4_EEPKS3_S8_PKT1_PKT2_PT3_PS3_PS5_21rocsparse_index_base_b,comdat
.Lfunc_end22:
	.size	_ZN9rocsparseL22coomvn_segmented_loopsILj256Ei21rocsparse_complex_numIfES2_S2_S2_EEvlT0_NS_24const_host_device_scalarIT4_EEPKS3_S8_PKT1_PKT2_PT3_PS3_PS5_21rocsparse_index_base_b, .Lfunc_end22-_ZN9rocsparseL22coomvn_segmented_loopsILj256Ei21rocsparse_complex_numIfES2_S2_S2_EEvlT0_NS_24const_host_device_scalarIT4_EEPKS3_S8_PKT1_PKT2_PT3_PS3_PS5_21rocsparse_index_base_b
                                        ; -- End function
	.set _ZN9rocsparseL22coomvn_segmented_loopsILj256Ei21rocsparse_complex_numIfES2_S2_S2_EEvlT0_NS_24const_host_device_scalarIT4_EEPKS3_S8_PKT1_PKT2_PT3_PS3_PS5_21rocsparse_index_base_b.num_vgpr, 40
	.set _ZN9rocsparseL22coomvn_segmented_loopsILj256Ei21rocsparse_complex_numIfES2_S2_S2_EEvlT0_NS_24const_host_device_scalarIT4_EEPKS3_S8_PKT1_PKT2_PT3_PS3_PS5_21rocsparse_index_base_b.num_agpr, 0
	.set _ZN9rocsparseL22coomvn_segmented_loopsILj256Ei21rocsparse_complex_numIfES2_S2_S2_EEvlT0_NS_24const_host_device_scalarIT4_EEPKS3_S8_PKT1_PKT2_PT3_PS3_PS5_21rocsparse_index_base_b.numbered_sgpr, 30
	.set _ZN9rocsparseL22coomvn_segmented_loopsILj256Ei21rocsparse_complex_numIfES2_S2_S2_EEvlT0_NS_24const_host_device_scalarIT4_EEPKS3_S8_PKT1_PKT2_PT3_PS3_PS5_21rocsparse_index_base_b.num_named_barrier, 0
	.set _ZN9rocsparseL22coomvn_segmented_loopsILj256Ei21rocsparse_complex_numIfES2_S2_S2_EEvlT0_NS_24const_host_device_scalarIT4_EEPKS3_S8_PKT1_PKT2_PT3_PS3_PS5_21rocsparse_index_base_b.private_seg_size, 0
	.set _ZN9rocsparseL22coomvn_segmented_loopsILj256Ei21rocsparse_complex_numIfES2_S2_S2_EEvlT0_NS_24const_host_device_scalarIT4_EEPKS3_S8_PKT1_PKT2_PT3_PS3_PS5_21rocsparse_index_base_b.uses_vcc, 1
	.set _ZN9rocsparseL22coomvn_segmented_loopsILj256Ei21rocsparse_complex_numIfES2_S2_S2_EEvlT0_NS_24const_host_device_scalarIT4_EEPKS3_S8_PKT1_PKT2_PT3_PS3_PS5_21rocsparse_index_base_b.uses_flat_scratch, 0
	.set _ZN9rocsparseL22coomvn_segmented_loopsILj256Ei21rocsparse_complex_numIfES2_S2_S2_EEvlT0_NS_24const_host_device_scalarIT4_EEPKS3_S8_PKT1_PKT2_PT3_PS3_PS5_21rocsparse_index_base_b.has_dyn_sized_stack, 0
	.set _ZN9rocsparseL22coomvn_segmented_loopsILj256Ei21rocsparse_complex_numIfES2_S2_S2_EEvlT0_NS_24const_host_device_scalarIT4_EEPKS3_S8_PKT1_PKT2_PT3_PS3_PS5_21rocsparse_index_base_b.has_recursion, 0
	.set _ZN9rocsparseL22coomvn_segmented_loopsILj256Ei21rocsparse_complex_numIfES2_S2_S2_EEvlT0_NS_24const_host_device_scalarIT4_EEPKS3_S8_PKT1_PKT2_PT3_PS3_PS5_21rocsparse_index_base_b.has_indirect_call, 0
	.section	.AMDGPU.csdata,"",@progbits
; Kernel info:
; codeLenInByte = 2932
; TotalNumSgprs: 32
; NumVgprs: 40
; ScratchSize: 0
; MemoryBound: 0
; FloatMode: 240
; IeeeMode: 1
; LDSByteSize: 3072 bytes/workgroup (compile time only)
; SGPRBlocks: 0
; VGPRBlocks: 2
; NumSGPRsForWavesPerEU: 32
; NumVGPRsForWavesPerEU: 40
; NamedBarCnt: 0
; Occupancy: 16
; WaveLimiterHint : 1
; COMPUTE_PGM_RSRC2:SCRATCH_EN: 0
; COMPUTE_PGM_RSRC2:USER_SGPR: 2
; COMPUTE_PGM_RSRC2:TRAP_HANDLER: 0
; COMPUTE_PGM_RSRC2:TGID_X_EN: 1
; COMPUTE_PGM_RSRC2:TGID_Y_EN: 0
; COMPUTE_PGM_RSRC2:TGID_Z_EN: 0
; COMPUTE_PGM_RSRC2:TIDIG_COMP_CNT: 0
	.section	.text._ZN9rocsparseL29coomvn_segmented_loops_reduceILj256Ei21rocsparse_complex_numIfES2_EEvT0_NS_24const_host_device_scalarIT2_EEPKS3_PKS5_PT1_b,"axG",@progbits,_ZN9rocsparseL29coomvn_segmented_loops_reduceILj256Ei21rocsparse_complex_numIfES2_EEvT0_NS_24const_host_device_scalarIT2_EEPKS3_PKS5_PT1_b,comdat
	.globl	_ZN9rocsparseL29coomvn_segmented_loops_reduceILj256Ei21rocsparse_complex_numIfES2_EEvT0_NS_24const_host_device_scalarIT2_EEPKS3_PKS5_PT1_b ; -- Begin function _ZN9rocsparseL29coomvn_segmented_loops_reduceILj256Ei21rocsparse_complex_numIfES2_EEvT0_NS_24const_host_device_scalarIT2_EEPKS3_PKS5_PT1_b
	.p2align	8
	.type	_ZN9rocsparseL29coomvn_segmented_loops_reduceILj256Ei21rocsparse_complex_numIfES2_EEvT0_NS_24const_host_device_scalarIT2_EEPKS3_PKS5_PT1_b,@function
_ZN9rocsparseL29coomvn_segmented_loops_reduceILj256Ei21rocsparse_complex_numIfES2_EEvT0_NS_24const_host_device_scalarIT2_EEPKS3_PKS5_PT1_b: ; @_ZN9rocsparseL29coomvn_segmented_loops_reduceILj256Ei21rocsparse_complex_numIfES2_EEvT0_NS_24const_host_device_scalarIT2_EEPKS3_PKS5_PT1_b
; %bb.0:
	s_clause 0x1
	s_load_b32 s6, s[0:1], 0x28
	s_load_b64 s[2:3], s[0:1], 0x8
	v_mov_b32_e32 v1, 0
	s_add_nc_u64 s[4:5], s[0:1], 8
	s_wait_kmcnt 0x0
	s_bitcmp1_b32 s6, 0
	s_cselect_b32 s3, s5, s3
	s_cselect_b32 s2, s4, s2
	flat_load_b64 v[2:3], v1, s[2:3]
	s_wait_loadcnt_dscnt 0x0
	v_cmp_neq_f32_e32 vcc_lo, 0, v2
	v_cmp_neq_f32_e64 s2, 0, v3
	s_or_b32 s2, vcc_lo, s2
	s_delay_alu instid0(SALU_CYCLE_1)
	s_and_saveexec_b32 s3, s2
	s_cbranch_execz .LBB23_42
; %bb.1:
	s_load_b32 s8, s[0:1], 0x0
	s_wait_kmcnt 0x0
	s_cmp_lt_i32 s8, 1
	s_cbranch_scc1 .LBB23_42
; %bb.2:
	v_sub_co_u32 v2, s9, v0, 1
	s_clause 0x1
	s_load_b128 s[4:7], s[0:1], 0x10
	s_load_b64 s[2:3], s[0:1], 0x20
	s_wait_xcnt 0x0
	v_sub_co_u32 v3, s1, v0, 4
	v_lshl_add_u32 v7, v2, 2, 0x800
	v_sub_co_u32 v2, s0, v0, 2
	s_xor_b32 s10, s0, -1
	s_xor_b32 s11, s1, -1
	v_lshl_add_u32 v11, v3, 2, 0x800
	v_lshl_add_u32 v9, v2, 2, 0x800
	v_sub_co_u32 v2, s0, v0, 8
	v_sub_co_u32 v3, s1, v0, 16
	s_xor_b32 s12, s0, -1
	v_lshl_add_u32 v13, v2, 2, 0x800
	v_sub_co_u32 v2, s0, v0, 32
	v_lshlrev_b32_e32 v6, 3, v0
	s_xor_b32 s13, s1, -1
	v_lshl_add_u32 v15, v3, 2, 0x800
	s_xor_b32 s14, s0, -1
	v_sub_co_u32 v3, s0, v0, 64
	v_subrev_co_u32 v4, s1, 0x80, v0
	v_lshl_or_b32 v1, v0, 2, 0x800
	v_dual_add_nc_u32 v8, -8, v6 :: v_dual_add_nc_u32 v10, -16, v6
	v_subrev_nc_u32_e32 v12, 32, v6
	v_subrev_nc_u32_e32 v14, 64, v6
	v_add_nc_u32_e32 v16, 0xffffff80, v6
	v_lshl_add_u32 v17, v2, 2, 0x800
	v_add_nc_u32_e32 v18, 0xffffff00, v6
	v_lshl_add_u32 v19, v3, 2, 0x800
	;; [unrolled: 2-line block ×3, first 2 shown]
	v_add_nc_u32_e32 v22, 0xfffffc00, v6
	s_xor_b32 s9, s9, -1
	s_xor_b32 s15, s0, -1
	;; [unrolled: 1-line block ×3, first 2 shown]
	s_mov_b32 s17, 0
	v_cmp_gt_u32_e32 vcc_lo, 0xff, v0
	s_branch .LBB23_4
.LBB23_3:                               ;   in Loop: Header=BB23_4 Depth=1
	s_wait_xcnt 0x0
	s_or_b32 exec_lo, exec_lo, s0
	s_addk_co_i32 s17, 0x100
	s_wait_storecnt 0x0
	s_cmp_lt_i32 s17, s8
	s_barrier_signal -1
	s_barrier_wait -1
	s_cbranch_scc0 .LBB23_42
.LBB23_4:                               ; =>This Inner Loop Header: Depth=1
	v_dual_mov_b32 v2, 0 :: v_dual_add_nc_u32 v23, s17, v0
	v_dual_mov_b32 v3, -1 :: v_dual_mov_b32 v4, 0
	v_mov_b32_e32 v5, 0
	s_mov_b32 s1, exec_lo
	s_delay_alu instid0(VALU_DEP_3)
	v_cmpx_gt_i32_e64 s8, v23
	s_cbranch_execz .LBB23_6
; %bb.5:                                ;   in Loop: Header=BB23_4 Depth=1
	s_wait_kmcnt 0x0
	s_clause 0x1
	global_load_b32 v3, v23, s[4:5] scale_offset
	global_load_b64 v[4:5], v23, s[6:7] scale_offset
.LBB23_6:                               ;   in Loop: Header=BB23_4 Depth=1
	s_wait_xcnt 0x0
	s_or_b32 exec_lo, exec_lo, s1
	s_wait_loadcnt 0x1
	ds_store_b32 v1, v3
	s_wait_loadcnt 0x0
	ds_store_b64 v6, v[4:5]
	v_mov_b32_e32 v3, 0
	s_wait_dscnt 0x0
	s_barrier_signal -1
	s_barrier_wait -1
	s_and_saveexec_b32 s1, s9
	s_cbranch_execz .LBB23_10
; %bb.7:                                ;   in Loop: Header=BB23_4 Depth=1
	ds_load_2addr_b32 v[4:5], v7 offset1:1
	v_dual_mov_b32 v3, 0 :: v_dual_mov_b32 v2, 0
	s_mov_b32 s18, exec_lo
	s_wait_dscnt 0x0
	v_cmpx_eq_u32_e64 v5, v4
; %bb.8:                                ;   in Loop: Header=BB23_4 Depth=1
	ds_load_b64 v[2:3], v8
; %bb.9:                                ;   in Loop: Header=BB23_4 Depth=1
	s_or_b32 exec_lo, exec_lo, s18
.LBB23_10:                              ;   in Loop: Header=BB23_4 Depth=1
	s_delay_alu instid0(SALU_CYCLE_1)
	s_or_b32 exec_lo, exec_lo, s1
	s_wait_dscnt 0x0
	s_barrier_signal -1
	s_barrier_wait -1
	ds_load_b64 v[4:5], v6
	s_wait_dscnt 0x0
	v_pk_add_f32 v[24:25], v[2:3], v[4:5]
	v_dual_mov_b32 v2, 0 :: v_dual_mov_b32 v4, 0
	v_mov_b32_e32 v5, 0
	ds_store_b64 v6, v[24:25]
	s_wait_dscnt 0x0
	s_barrier_signal -1
	s_barrier_wait -1
	s_and_saveexec_b32 s1, s10
	s_cbranch_execz .LBB23_14
; %bb.11:                               ;   in Loop: Header=BB23_4 Depth=1
	ds_load_b32 v3, v1
	ds_load_b32 v4, v9
	v_mov_b32_e32 v5, 0
	s_wait_dscnt 0x0
	v_cmp_eq_u32_e64 s0, v3, v4
	v_mov_b32_e32 v4, 0
	s_and_saveexec_b32 s18, s0
; %bb.12:                               ;   in Loop: Header=BB23_4 Depth=1
	ds_load_b64 v[4:5], v10
; %bb.13:                               ;   in Loop: Header=BB23_4 Depth=1
	s_or_b32 exec_lo, exec_lo, s18
.LBB23_14:                              ;   in Loop: Header=BB23_4 Depth=1
	s_delay_alu instid0(SALU_CYCLE_1)
	s_or_b32 exec_lo, exec_lo, s1
	s_wait_dscnt 0x0
	s_barrier_signal -1
	s_barrier_wait -1
	ds_load_b64 v[24:25], v6
	v_mov_b32_e32 v3, 0
	s_wait_dscnt 0x0
	v_pk_add_f32 v[4:5], v[4:5], v[24:25]
	ds_store_b64 v6, v[4:5]
	s_wait_dscnt 0x0
	s_barrier_signal -1
	s_barrier_wait -1
	s_and_saveexec_b32 s1, s11
	s_cbranch_execz .LBB23_18
; %bb.15:                               ;   in Loop: Header=BB23_4 Depth=1
	ds_load_b32 v2, v1
	ds_load_b32 v4, v11
	v_mov_b32_e32 v3, 0
	s_wait_dscnt 0x0
	v_cmp_eq_u32_e64 s0, v2, v4
	v_mov_b32_e32 v2, 0
	s_and_saveexec_b32 s18, s0
; %bb.16:                               ;   in Loop: Header=BB23_4 Depth=1
	ds_load_b64 v[2:3], v12
; %bb.17:                               ;   in Loop: Header=BB23_4 Depth=1
	s_or_b32 exec_lo, exec_lo, s18
.LBB23_18:                              ;   in Loop: Header=BB23_4 Depth=1
	s_delay_alu instid0(SALU_CYCLE_1)
	s_or_b32 exec_lo, exec_lo, s1
	s_wait_dscnt 0x0
	s_barrier_signal -1
	s_barrier_wait -1
	ds_load_b64 v[4:5], v6
	s_wait_dscnt 0x0
	v_pk_add_f32 v[24:25], v[2:3], v[4:5]
	v_dual_mov_b32 v2, 0 :: v_dual_mov_b32 v4, 0
	v_mov_b32_e32 v5, 0
	ds_store_b64 v6, v[24:25]
	s_wait_dscnt 0x0
	s_barrier_signal -1
	s_barrier_wait -1
	s_and_saveexec_b32 s1, s12
	s_cbranch_execz .LBB23_22
; %bb.19:                               ;   in Loop: Header=BB23_4 Depth=1
	ds_load_b32 v3, v1
	ds_load_b32 v4, v13
	v_mov_b32_e32 v5, 0
	s_wait_dscnt 0x0
	v_cmp_eq_u32_e64 s0, v3, v4
	v_mov_b32_e32 v4, 0
	s_and_saveexec_b32 s18, s0
; %bb.20:                               ;   in Loop: Header=BB23_4 Depth=1
	ds_load_b64 v[4:5], v14
; %bb.21:                               ;   in Loop: Header=BB23_4 Depth=1
	s_or_b32 exec_lo, exec_lo, s18
.LBB23_22:                              ;   in Loop: Header=BB23_4 Depth=1
	s_delay_alu instid0(SALU_CYCLE_1)
	s_or_b32 exec_lo, exec_lo, s1
	s_wait_dscnt 0x0
	s_barrier_signal -1
	s_barrier_wait -1
	ds_load_b64 v[24:25], v6
	v_mov_b32_e32 v3, 0
	s_wait_dscnt 0x0
	v_pk_add_f32 v[4:5], v[4:5], v[24:25]
	ds_store_b64 v6, v[4:5]
	s_wait_dscnt 0x0
	s_barrier_signal -1
	s_barrier_wait -1
	s_and_saveexec_b32 s1, s13
	s_cbranch_execz .LBB23_26
; %bb.23:                               ;   in Loop: Header=BB23_4 Depth=1
	ds_load_b32 v2, v1
	ds_load_b32 v4, v15
	v_mov_b32_e32 v3, 0
	s_wait_dscnt 0x0
	v_cmp_eq_u32_e64 s0, v2, v4
	v_mov_b32_e32 v2, 0
	s_and_saveexec_b32 s18, s0
; %bb.24:                               ;   in Loop: Header=BB23_4 Depth=1
	ds_load_b64 v[2:3], v16
; %bb.25:                               ;   in Loop: Header=BB23_4 Depth=1
	s_or_b32 exec_lo, exec_lo, s18
.LBB23_26:                              ;   in Loop: Header=BB23_4 Depth=1
	;; [unrolled: 57-line block ×3, first 2 shown]
	s_delay_alu instid0(SALU_CYCLE_1)
	s_or_b32 exec_lo, exec_lo, s1
	s_wait_dscnt 0x0
	s_barrier_signal -1
	s_barrier_wait -1
	ds_load_b64 v[4:5], v6
	s_wait_dscnt 0x0
	v_pk_add_f32 v[4:5], v[2:3], v[4:5]
	v_dual_mov_b32 v2, 0 :: v_dual_mov_b32 v3, 0
	ds_store_b64 v6, v[4:5]
	s_wait_dscnt 0x0
	s_barrier_signal -1
	s_barrier_wait -1
	s_and_saveexec_b32 s1, s16
	s_cbranch_execz .LBB23_38
; %bb.35:                               ;   in Loop: Header=BB23_4 Depth=1
	ds_load_b32 v2, v1
	ds_load_b32 v4, v21
	v_mov_b32_e32 v3, 0
	s_wait_dscnt 0x0
	v_cmp_eq_u32_e64 s0, v2, v4
	v_mov_b32_e32 v2, 0
	s_and_saveexec_b32 s18, s0
; %bb.36:                               ;   in Loop: Header=BB23_4 Depth=1
	ds_load_b64 v[2:3], v22
; %bb.37:                               ;   in Loop: Header=BB23_4 Depth=1
	s_or_b32 exec_lo, exec_lo, s18
.LBB23_38:                              ;   in Loop: Header=BB23_4 Depth=1
	s_delay_alu instid0(SALU_CYCLE_1)
	s_or_b32 exec_lo, exec_lo, s1
	s_wait_dscnt 0x0
	s_barrier_signal -1
	s_barrier_wait -1
	ds_load_b64 v[4:5], v6
	s_wait_dscnt 0x0
	v_pk_add_f32 v[2:3], v[2:3], v[4:5]
	ds_store_b64 v6, v[2:3]
	s_wait_dscnt 0x0
	s_barrier_signal -1
	s_barrier_wait -1
	ds_load_b32 v2, v1
	v_mov_b32_e32 v3, -1
	s_and_saveexec_b32 s0, vcc_lo
; %bb.39:                               ;   in Loop: Header=BB23_4 Depth=1
	ds_load_b32 v3, v1 offset:4
; %bb.40:                               ;   in Loop: Header=BB23_4 Depth=1
	s_or_b32 exec_lo, exec_lo, s0
	s_wait_dscnt 0x0
	v_cmp_ne_u32_e64 s0, v2, v3
	v_cmp_lt_i32_e64 s1, -1, v2
	s_and_b32 s1, s1, s0
	s_delay_alu instid0(SALU_CYCLE_1)
	s_and_saveexec_b32 s0, s1
	s_cbranch_execz .LBB23_3
; %bb.41:                               ;   in Loop: Header=BB23_4 Depth=1
	s_wait_kmcnt 0x0
	global_load_b64 v[4:5], v2, s[2:3] scale_offset
	ds_load_b64 v[24:25], v6
	s_wait_loadcnt_dscnt 0x0
	v_pk_add_f32 v[4:5], v[24:25], v[4:5]
	global_store_b64 v2, v[4:5], s[2:3] scale_offset
	s_branch .LBB23_3
.LBB23_42:
	s_endpgm
	.section	.rodata,"a",@progbits
	.p2align	6, 0x0
	.amdhsa_kernel _ZN9rocsparseL29coomvn_segmented_loops_reduceILj256Ei21rocsparse_complex_numIfES2_EEvT0_NS_24const_host_device_scalarIT2_EEPKS3_PKS5_PT1_b
		.amdhsa_group_segment_fixed_size 3072
		.amdhsa_private_segment_fixed_size 0
		.amdhsa_kernarg_size 44
		.amdhsa_user_sgpr_count 2
		.amdhsa_user_sgpr_dispatch_ptr 0
		.amdhsa_user_sgpr_queue_ptr 0
		.amdhsa_user_sgpr_kernarg_segment_ptr 1
		.amdhsa_user_sgpr_dispatch_id 0
		.amdhsa_user_sgpr_kernarg_preload_length 0
		.amdhsa_user_sgpr_kernarg_preload_offset 0
		.amdhsa_user_sgpr_private_segment_size 0
		.amdhsa_wavefront_size32 1
		.amdhsa_uses_dynamic_stack 0
		.amdhsa_enable_private_segment 0
		.amdhsa_system_sgpr_workgroup_id_x 1
		.amdhsa_system_sgpr_workgroup_id_y 0
		.amdhsa_system_sgpr_workgroup_id_z 0
		.amdhsa_system_sgpr_workgroup_info 0
		.amdhsa_system_vgpr_workitem_id 0
		.amdhsa_next_free_vgpr 26
		.amdhsa_next_free_sgpr 19
		.amdhsa_named_barrier_count 0
		.amdhsa_reserve_vcc 1
		.amdhsa_float_round_mode_32 0
		.amdhsa_float_round_mode_16_64 0
		.amdhsa_float_denorm_mode_32 3
		.amdhsa_float_denorm_mode_16_64 3
		.amdhsa_fp16_overflow 0
		.amdhsa_memory_ordered 1
		.amdhsa_forward_progress 1
		.amdhsa_inst_pref_size 14
		.amdhsa_round_robin_scheduling 0
		.amdhsa_exception_fp_ieee_invalid_op 0
		.amdhsa_exception_fp_denorm_src 0
		.amdhsa_exception_fp_ieee_div_zero 0
		.amdhsa_exception_fp_ieee_overflow 0
		.amdhsa_exception_fp_ieee_underflow 0
		.amdhsa_exception_fp_ieee_inexact 0
		.amdhsa_exception_int_div_zero 0
	.end_amdhsa_kernel
	.section	.text._ZN9rocsparseL29coomvn_segmented_loops_reduceILj256Ei21rocsparse_complex_numIfES2_EEvT0_NS_24const_host_device_scalarIT2_EEPKS3_PKS5_PT1_b,"axG",@progbits,_ZN9rocsparseL29coomvn_segmented_loops_reduceILj256Ei21rocsparse_complex_numIfES2_EEvT0_NS_24const_host_device_scalarIT2_EEPKS3_PKS5_PT1_b,comdat
.Lfunc_end23:
	.size	_ZN9rocsparseL29coomvn_segmented_loops_reduceILj256Ei21rocsparse_complex_numIfES2_EEvT0_NS_24const_host_device_scalarIT2_EEPKS3_PKS5_PT1_b, .Lfunc_end23-_ZN9rocsparseL29coomvn_segmented_loops_reduceILj256Ei21rocsparse_complex_numIfES2_EEvT0_NS_24const_host_device_scalarIT2_EEPKS3_PKS5_PT1_b
                                        ; -- End function
	.set _ZN9rocsparseL29coomvn_segmented_loops_reduceILj256Ei21rocsparse_complex_numIfES2_EEvT0_NS_24const_host_device_scalarIT2_EEPKS3_PKS5_PT1_b.num_vgpr, 26
	.set _ZN9rocsparseL29coomvn_segmented_loops_reduceILj256Ei21rocsparse_complex_numIfES2_EEvT0_NS_24const_host_device_scalarIT2_EEPKS3_PKS5_PT1_b.num_agpr, 0
	.set _ZN9rocsparseL29coomvn_segmented_loops_reduceILj256Ei21rocsparse_complex_numIfES2_EEvT0_NS_24const_host_device_scalarIT2_EEPKS3_PKS5_PT1_b.numbered_sgpr, 19
	.set _ZN9rocsparseL29coomvn_segmented_loops_reduceILj256Ei21rocsparse_complex_numIfES2_EEvT0_NS_24const_host_device_scalarIT2_EEPKS3_PKS5_PT1_b.num_named_barrier, 0
	.set _ZN9rocsparseL29coomvn_segmented_loops_reduceILj256Ei21rocsparse_complex_numIfES2_EEvT0_NS_24const_host_device_scalarIT2_EEPKS3_PKS5_PT1_b.private_seg_size, 0
	.set _ZN9rocsparseL29coomvn_segmented_loops_reduceILj256Ei21rocsparse_complex_numIfES2_EEvT0_NS_24const_host_device_scalarIT2_EEPKS3_PKS5_PT1_b.uses_vcc, 1
	.set _ZN9rocsparseL29coomvn_segmented_loops_reduceILj256Ei21rocsparse_complex_numIfES2_EEvT0_NS_24const_host_device_scalarIT2_EEPKS3_PKS5_PT1_b.uses_flat_scratch, 0
	.set _ZN9rocsparseL29coomvn_segmented_loops_reduceILj256Ei21rocsparse_complex_numIfES2_EEvT0_NS_24const_host_device_scalarIT2_EEPKS3_PKS5_PT1_b.has_dyn_sized_stack, 0
	.set _ZN9rocsparseL29coomvn_segmented_loops_reduceILj256Ei21rocsparse_complex_numIfES2_EEvT0_NS_24const_host_device_scalarIT2_EEPKS3_PKS5_PT1_b.has_recursion, 0
	.set _ZN9rocsparseL29coomvn_segmented_loops_reduceILj256Ei21rocsparse_complex_numIfES2_EEvT0_NS_24const_host_device_scalarIT2_EEPKS3_PKS5_PT1_b.has_indirect_call, 0
	.section	.AMDGPU.csdata,"",@progbits
; Kernel info:
; codeLenInByte = 1704
; TotalNumSgprs: 21
; NumVgprs: 26
; ScratchSize: 0
; MemoryBound: 0
; FloatMode: 240
; IeeeMode: 1
; LDSByteSize: 3072 bytes/workgroup (compile time only)
; SGPRBlocks: 0
; VGPRBlocks: 1
; NumSGPRsForWavesPerEU: 21
; NumVGPRsForWavesPerEU: 26
; NamedBarCnt: 0
; Occupancy: 16
; WaveLimiterHint : 0
; COMPUTE_PGM_RSRC2:SCRATCH_EN: 0
; COMPUTE_PGM_RSRC2:USER_SGPR: 2
; COMPUTE_PGM_RSRC2:TRAP_HANDLER: 0
; COMPUTE_PGM_RSRC2:TGID_X_EN: 1
; COMPUTE_PGM_RSRC2:TGID_Y_EN: 0
; COMPUTE_PGM_RSRC2:TGID_Z_EN: 0
; COMPUTE_PGM_RSRC2:TIDIG_COMP_CNT: 0
	.section	.text._ZN9rocsparseL13coomvt_kernelILj1024Ei21rocsparse_complex_numIfES2_S2_S2_EEv20rocsparse_operation_lNS_24const_host_device_scalarIT4_EEPKT0_S9_PKT1_PKT2_PT3_21rocsparse_index_base_b,"axG",@progbits,_ZN9rocsparseL13coomvt_kernelILj1024Ei21rocsparse_complex_numIfES2_S2_S2_EEv20rocsparse_operation_lNS_24const_host_device_scalarIT4_EEPKT0_S9_PKT1_PKT2_PT3_21rocsparse_index_base_b,comdat
	.globl	_ZN9rocsparseL13coomvt_kernelILj1024Ei21rocsparse_complex_numIfES2_S2_S2_EEv20rocsparse_operation_lNS_24const_host_device_scalarIT4_EEPKT0_S9_PKT1_PKT2_PT3_21rocsparse_index_base_b ; -- Begin function _ZN9rocsparseL13coomvt_kernelILj1024Ei21rocsparse_complex_numIfES2_S2_S2_EEv20rocsparse_operation_lNS_24const_host_device_scalarIT4_EEPKT0_S9_PKT1_PKT2_PT3_21rocsparse_index_base_b
	.p2align	8
	.type	_ZN9rocsparseL13coomvt_kernelILj1024Ei21rocsparse_complex_numIfES2_S2_S2_EEv20rocsparse_operation_lNS_24const_host_device_scalarIT4_EEPKT0_S9_PKT1_PKT2_PT3_21rocsparse_index_base_b,@function
_ZN9rocsparseL13coomvt_kernelILj1024Ei21rocsparse_complex_numIfES2_S2_S2_EEv20rocsparse_operation_lNS_24const_host_device_scalarIT4_EEPKT0_S9_PKT1_PKT2_PT3_21rocsparse_index_base_b: ; @_ZN9rocsparseL13coomvt_kernelILj1024Ei21rocsparse_complex_numIfES2_S2_S2_EEv20rocsparse_operation_lNS_24const_host_device_scalarIT4_EEPKT0_S9_PKT1_PKT2_PT3_21rocsparse_index_base_b
; %bb.0:
	s_clause 0x1
	s_load_b64 s[8:9], s[0:1], 0x40
	s_load_b128 s[4:7], s[0:1], 0x8
	v_mov_b32_e32 v1, 0
	s_add_nc_u64 s[2:3], s[0:1], 16
	s_wait_kmcnt 0x0
	s_bitcmp1_b32 s9, 0
	s_cselect_b32 s3, s3, s7
	s_cselect_b32 s2, s2, s6
	flat_load_b64 v[2:3], v1, s[2:3]
	s_wait_loadcnt_dscnt 0x0
	v_cmp_neq_f32_e32 vcc_lo, 0, v2
	v_cmp_neq_f32_e64 s2, 0, v3
	s_or_b32 s2, vcc_lo, s2
	s_delay_alu instid0(SALU_CYCLE_1)
	s_and_saveexec_b32 s3, s2
	s_cbranch_execz .LBB24_3
; %bb.1:
	s_load_b32 s2, s[0:1], 0x54
	s_bfe_u32 s3, ttmp6, 0x4000c
	s_and_b32 s6, ttmp6, 15
	s_add_co_i32 s3, s3, 1
	s_getreg_b32 s7, hwreg(HW_REG_IB_STS2, 6, 4)
	s_mul_i32 s3, ttmp9, s3
	s_delay_alu instid0(SALU_CYCLE_1) | instskip(SKIP_4) | instid1(SALU_CYCLE_1)
	s_add_co_i32 s6, s6, s3
	s_wait_kmcnt 0x0
	s_and_b32 s2, s2, 0xffff
	s_cmp_eq_u32 s7, 0
	s_cselect_b32 s3, ttmp9, s6
	v_mad_u32 v0, s3, s2, v0
	s_delay_alu instid0(VALU_DEP_1)
	v_cmp_gt_i64_e32 vcc_lo, s[4:5], v[0:1]
	s_and_b32 exec_lo, exec_lo, vcc_lo
	s_cbranch_execz .LBB24_3
; %bb.2:
	s_load_b256 s[12:19], s[0:1], 0x18
	v_lshlrev_b64_e32 v[4:5], 2, v[0:1]
	s_load_b32 s2, s[0:1], 0x0
	s_wait_kmcnt 0x0
	s_delay_alu instid0(VALU_DEP_1)
	v_add_nc_u64_e32 v[6:7], s[12:13], v[4:5]
	v_lshl_add_u64 v[0:1], v[0:1], 3, s[16:17]
	v_add_nc_u64_e32 v[4:5], s[14:15], v[4:5]
	s_cmp_eq_u32 s2, 0x71
	s_load_b64 s[0:1], s[0:1], 0x38
	s_cselect_b32 s2, -1, 0
	global_load_b64 v[0:1], v[0:1], off
	global_load_b32 v6, v[6:7], off
	global_load_b32 v7, v[4:5], off
	s_wait_loadcnt 0x2
	v_cndmask_b32_e64 v1, v1, -v1, s2
	s_wait_loadcnt 0x1
	s_wait_xcnt 0x0
	v_subrev_nc_u32_e32 v4, s8, v6
	s_wait_loadcnt 0x0
	v_subrev_nc_u32_e32 v6, s8, v7
	v_mul_f32_e32 v8, v2, v1
	global_load_b64 v[4:5], v4, s[18:19] scale_offset
	v_dual_fmac_f32 v8, v3, v0 :: v_dual_ashrrev_i32 v7, 31, v6
	v_mul_f32_e64 v9, v1, -v3
	s_delay_alu instid0(VALU_DEP_1) | instskip(SKIP_1) | instid1(VALU_DEP_3)
	v_fmac_f32_e32 v9, v2, v0
	s_wait_kmcnt 0x0
	v_lshl_add_u64 v[0:1], v[6:7], 3, s[0:1]
	s_wait_loadcnt 0x0
	v_mul_f32_e64 v2, v5, -v8
	s_delay_alu instid0(VALU_DEP_1) | instskip(NEXT) | instid1(VALU_DEP_1)
	v_dual_mul_f32 v3, v9, v5 :: v_dual_fmac_f32 v2, v9, v4
	v_fmac_f32_e32 v3, v8, v4
	global_atomic_add_f32 v[0:1], v2, off scope:SCOPE_DEV
	s_wait_xcnt 0x0
	global_atomic_add_f32 v[0:1], v3, off offset:4 scope:SCOPE_DEV
.LBB24_3:
	s_endpgm
	.section	.rodata,"a",@progbits
	.p2align	6, 0x0
	.amdhsa_kernel _ZN9rocsparseL13coomvt_kernelILj1024Ei21rocsparse_complex_numIfES2_S2_S2_EEv20rocsparse_operation_lNS_24const_host_device_scalarIT4_EEPKT0_S9_PKT1_PKT2_PT3_21rocsparse_index_base_b
		.amdhsa_group_segment_fixed_size 0
		.amdhsa_private_segment_fixed_size 0
		.amdhsa_kernarg_size 328
		.amdhsa_user_sgpr_count 2
		.amdhsa_user_sgpr_dispatch_ptr 0
		.amdhsa_user_sgpr_queue_ptr 0
		.amdhsa_user_sgpr_kernarg_segment_ptr 1
		.amdhsa_user_sgpr_dispatch_id 0
		.amdhsa_user_sgpr_kernarg_preload_length 0
		.amdhsa_user_sgpr_kernarg_preload_offset 0
		.amdhsa_user_sgpr_private_segment_size 0
		.amdhsa_wavefront_size32 1
		.amdhsa_uses_dynamic_stack 0
		.amdhsa_enable_private_segment 0
		.amdhsa_system_sgpr_workgroup_id_x 1
		.amdhsa_system_sgpr_workgroup_id_y 0
		.amdhsa_system_sgpr_workgroup_id_z 0
		.amdhsa_system_sgpr_workgroup_info 0
		.amdhsa_system_vgpr_workitem_id 0
		.amdhsa_next_free_vgpr 10
		.amdhsa_next_free_sgpr 20
		.amdhsa_named_barrier_count 0
		.amdhsa_reserve_vcc 1
		.amdhsa_float_round_mode_32 0
		.amdhsa_float_round_mode_16_64 0
		.amdhsa_float_denorm_mode_32 3
		.amdhsa_float_denorm_mode_16_64 3
		.amdhsa_fp16_overflow 0
		.amdhsa_memory_ordered 1
		.amdhsa_forward_progress 1
		.amdhsa_inst_pref_size 4
		.amdhsa_round_robin_scheduling 0
		.amdhsa_exception_fp_ieee_invalid_op 0
		.amdhsa_exception_fp_denorm_src 0
		.amdhsa_exception_fp_ieee_div_zero 0
		.amdhsa_exception_fp_ieee_overflow 0
		.amdhsa_exception_fp_ieee_underflow 0
		.amdhsa_exception_fp_ieee_inexact 0
		.amdhsa_exception_int_div_zero 0
	.end_amdhsa_kernel
	.section	.text._ZN9rocsparseL13coomvt_kernelILj1024Ei21rocsparse_complex_numIfES2_S2_S2_EEv20rocsparse_operation_lNS_24const_host_device_scalarIT4_EEPKT0_S9_PKT1_PKT2_PT3_21rocsparse_index_base_b,"axG",@progbits,_ZN9rocsparseL13coomvt_kernelILj1024Ei21rocsparse_complex_numIfES2_S2_S2_EEv20rocsparse_operation_lNS_24const_host_device_scalarIT4_EEPKT0_S9_PKT1_PKT2_PT3_21rocsparse_index_base_b,comdat
.Lfunc_end24:
	.size	_ZN9rocsparseL13coomvt_kernelILj1024Ei21rocsparse_complex_numIfES2_S2_S2_EEv20rocsparse_operation_lNS_24const_host_device_scalarIT4_EEPKT0_S9_PKT1_PKT2_PT3_21rocsparse_index_base_b, .Lfunc_end24-_ZN9rocsparseL13coomvt_kernelILj1024Ei21rocsparse_complex_numIfES2_S2_S2_EEv20rocsparse_operation_lNS_24const_host_device_scalarIT4_EEPKT0_S9_PKT1_PKT2_PT3_21rocsparse_index_base_b
                                        ; -- End function
	.set _ZN9rocsparseL13coomvt_kernelILj1024Ei21rocsparse_complex_numIfES2_S2_S2_EEv20rocsparse_operation_lNS_24const_host_device_scalarIT4_EEPKT0_S9_PKT1_PKT2_PT3_21rocsparse_index_base_b.num_vgpr, 10
	.set _ZN9rocsparseL13coomvt_kernelILj1024Ei21rocsparse_complex_numIfES2_S2_S2_EEv20rocsparse_operation_lNS_24const_host_device_scalarIT4_EEPKT0_S9_PKT1_PKT2_PT3_21rocsparse_index_base_b.num_agpr, 0
	.set _ZN9rocsparseL13coomvt_kernelILj1024Ei21rocsparse_complex_numIfES2_S2_S2_EEv20rocsparse_operation_lNS_24const_host_device_scalarIT4_EEPKT0_S9_PKT1_PKT2_PT3_21rocsparse_index_base_b.numbered_sgpr, 20
	.set _ZN9rocsparseL13coomvt_kernelILj1024Ei21rocsparse_complex_numIfES2_S2_S2_EEv20rocsparse_operation_lNS_24const_host_device_scalarIT4_EEPKT0_S9_PKT1_PKT2_PT3_21rocsparse_index_base_b.num_named_barrier, 0
	.set _ZN9rocsparseL13coomvt_kernelILj1024Ei21rocsparse_complex_numIfES2_S2_S2_EEv20rocsparse_operation_lNS_24const_host_device_scalarIT4_EEPKT0_S9_PKT1_PKT2_PT3_21rocsparse_index_base_b.private_seg_size, 0
	.set _ZN9rocsparseL13coomvt_kernelILj1024Ei21rocsparse_complex_numIfES2_S2_S2_EEv20rocsparse_operation_lNS_24const_host_device_scalarIT4_EEPKT0_S9_PKT1_PKT2_PT3_21rocsparse_index_base_b.uses_vcc, 1
	.set _ZN9rocsparseL13coomvt_kernelILj1024Ei21rocsparse_complex_numIfES2_S2_S2_EEv20rocsparse_operation_lNS_24const_host_device_scalarIT4_EEPKT0_S9_PKT1_PKT2_PT3_21rocsparse_index_base_b.uses_flat_scratch, 0
	.set _ZN9rocsparseL13coomvt_kernelILj1024Ei21rocsparse_complex_numIfES2_S2_S2_EEv20rocsparse_operation_lNS_24const_host_device_scalarIT4_EEPKT0_S9_PKT1_PKT2_PT3_21rocsparse_index_base_b.has_dyn_sized_stack, 0
	.set _ZN9rocsparseL13coomvt_kernelILj1024Ei21rocsparse_complex_numIfES2_S2_S2_EEv20rocsparse_operation_lNS_24const_host_device_scalarIT4_EEPKT0_S9_PKT1_PKT2_PT3_21rocsparse_index_base_b.has_recursion, 0
	.set _ZN9rocsparseL13coomvt_kernelILj1024Ei21rocsparse_complex_numIfES2_S2_S2_EEv20rocsparse_operation_lNS_24const_host_device_scalarIT4_EEPKT0_S9_PKT1_PKT2_PT3_21rocsparse_index_base_b.has_indirect_call, 0
	.section	.AMDGPU.csdata,"",@progbits
; Kernel info:
; codeLenInByte = 416
; TotalNumSgprs: 22
; NumVgprs: 10
; ScratchSize: 0
; MemoryBound: 0
; FloatMode: 240
; IeeeMode: 1
; LDSByteSize: 0 bytes/workgroup (compile time only)
; SGPRBlocks: 0
; VGPRBlocks: 0
; NumSGPRsForWavesPerEU: 22
; NumVGPRsForWavesPerEU: 10
; NamedBarCnt: 0
; Occupancy: 16
; WaveLimiterHint : 1
; COMPUTE_PGM_RSRC2:SCRATCH_EN: 0
; COMPUTE_PGM_RSRC2:USER_SGPR: 2
; COMPUTE_PGM_RSRC2:TRAP_HANDLER: 0
; COMPUTE_PGM_RSRC2:TGID_X_EN: 1
; COMPUTE_PGM_RSRC2:TGID_Y_EN: 0
; COMPUTE_PGM_RSRC2:TGID_Z_EN: 0
; COMPUTE_PGM_RSRC2:TIDIG_COMP_CNT: 0
	.section	.text._ZN9rocsparseL19coomvn_atomic_loopsILj256ELj1Ei21rocsparse_complex_numIfES2_S2_S2_EEvlNS_24const_host_device_scalarIT5_EEPKT1_S8_PKT2_PKT3_PT4_21rocsparse_index_base_b,"axG",@progbits,_ZN9rocsparseL19coomvn_atomic_loopsILj256ELj1Ei21rocsparse_complex_numIfES2_S2_S2_EEvlNS_24const_host_device_scalarIT5_EEPKT1_S8_PKT2_PKT3_PT4_21rocsparse_index_base_b,comdat
	.globl	_ZN9rocsparseL19coomvn_atomic_loopsILj256ELj1Ei21rocsparse_complex_numIfES2_S2_S2_EEvlNS_24const_host_device_scalarIT5_EEPKT1_S8_PKT2_PKT3_PT4_21rocsparse_index_base_b ; -- Begin function _ZN9rocsparseL19coomvn_atomic_loopsILj256ELj1Ei21rocsparse_complex_numIfES2_S2_S2_EEvlNS_24const_host_device_scalarIT5_EEPKT1_S8_PKT2_PKT3_PT4_21rocsparse_index_base_b
	.p2align	8
	.type	_ZN9rocsparseL19coomvn_atomic_loopsILj256ELj1Ei21rocsparse_complex_numIfES2_S2_S2_EEvlNS_24const_host_device_scalarIT5_EEPKT1_S8_PKT2_PKT3_PT4_21rocsparse_index_base_b,@function
_ZN9rocsparseL19coomvn_atomic_loopsILj256ELj1Ei21rocsparse_complex_numIfES2_S2_S2_EEvlNS_24const_host_device_scalarIT5_EEPKT1_S8_PKT2_PKT3_PT4_21rocsparse_index_base_b: ; @_ZN9rocsparseL19coomvn_atomic_loopsILj256ELj1Ei21rocsparse_complex_numIfES2_S2_S2_EEvlNS_24const_host_device_scalarIT5_EEPKT1_S8_PKT2_PKT3_PT4_21rocsparse_index_base_b
; %bb.0:
	s_clause 0x1
	s_load_b64 s[8:9], s[0:1], 0x38
	s_load_b128 s[4:7], s[0:1], 0x0
	v_mov_b32_e32 v9, 0
	s_or_b64 s[2:3], s[0:1], 8
	s_wait_kmcnt 0x0
	s_bitcmp1_b32 s9, 0
	s_cselect_b32 s3, s3, s7
	s_cselect_b32 s2, s2, s6
	flat_load_b64 v[2:3], v9, s[2:3]
	s_wait_loadcnt_dscnt 0x0
	v_cmp_neq_f32_e32 vcc_lo, 0, v2
	v_cmp_neq_f32_e64 s2, 0, v3
	s_or_b32 s2, vcc_lo, s2
	s_delay_alu instid0(SALU_CYCLE_1)
	s_and_saveexec_b32 s3, s2
	s_cbranch_execz .LBB25_40
; %bb.1:
	s_bfe_u32 s2, ttmp6, 0x4000c
	s_and_b32 s3, ttmp6, 15
	s_add_co_i32 s2, s2, 1
	s_getreg_b32 s6, hwreg(HW_REG_IB_STS2, 6, 4)
	s_mul_i32 s2, ttmp9, s2
	v_mov_b64_e32 v[4:5], 0
	s_add_co_i32 s3, s3, s2
	s_cmp_eq_u32 s6, 0
	v_mov_b32_e32 v6, -1
	s_cselect_b32 s2, ttmp9, s3
	s_delay_alu instid0(SALU_CYCLE_1) | instskip(SKIP_1) | instid1(VALU_DEP_1)
	v_lshl_or_b32 v8, s2, 8, v0
	s_mov_b32 s2, exec_lo
	v_cmpx_gt_i64_e64 s[4:5], v[8:9]
	s_cbranch_execz .LBB25_3
; %bb.2:
	s_load_b256 s[12:19], s[0:1], 0x10
	v_lshlrev_b64_e32 v[4:5], 2, v[8:9]
	s_wait_kmcnt 0x0
	s_delay_alu instid0(VALU_DEP_1)
	v_add_nc_u64_e32 v[6:7], s[14:15], v[4:5]
	v_add_nc_u64_e32 v[4:5], s[12:13], v[4:5]
	global_load_b32 v1, v[6:7], off th:TH_LOAD_NT
	s_wait_xcnt 0x0
	v_lshl_add_u64 v[6:7], v[8:9], 3, s[16:17]
	s_wait_loadcnt 0x0
	v_subrev_nc_u32_e32 v1, s8, v1
	global_load_b64 v[8:9], v1, s[18:19] scale_offset
	global_load_b64 v[10:11], v[6:7], off th:TH_LOAD_NT
	global_load_b32 v12, v[4:5], off th:TH_LOAD_NT
	s_wait_loadcnt 0x1
	s_wait_xcnt 0x0
	v_pk_mul_f32 v[4:5], v[8:9], v[10:11] op_sel:[1,1] op_sel_hi:[1,0] neg_lo:[0,1]
	s_wait_loadcnt 0x0
	v_subrev_nc_u32_e32 v6, s8, v12
	s_delay_alu instid0(VALU_DEP_2)
	v_pk_fma_f32 v[4:5], v[10:11], v[8:9], v[4:5] op_sel_hi:[1,0,1]
.LBB25_3:
	s_or_b32 exec_lo, exec_lo, s2
	v_dual_lshlrev_b32 v8, 2, v0 :: v_dual_lshlrev_b32 v7, 3, v0
	s_mov_b32 s2, exec_lo
	ds_store_b32 v8, v6 offset:2048
	ds_store_b64 v7, v[4:5]
	v_or_b32_e32 v1, 0x800, v8
	s_wait_dscnt 0x0
	s_barrier_signal -1
	s_barrier_wait -1
	v_cmpx_ne_u32_e32 0, v0
	s_cbranch_execz .LBB25_7
; %bb.4:
	v_add_nc_u32_e32 v8, -4, v1
	s_mov_b32 s3, exec_lo
	ds_load_b32 v8, v8
	s_wait_dscnt 0x0
	v_cmpx_eq_u32_e64 v6, v8
	s_cbranch_execz .LBB25_6
; %bb.5:
	v_add_nc_u32_e32 v8, -8, v7
	ds_load_b64 v[8:9], v8
	s_wait_dscnt 0x0
	v_pk_add_f32 v[4:5], v[4:5], v[8:9]
.LBB25_6:
	s_or_b32 exec_lo, exec_lo, s3
.LBB25_7:
	s_delay_alu instid0(SALU_CYCLE_1) | instskip(NEXT) | instid1(SALU_CYCLE_1)
	s_or_b32 exec_lo, exec_lo, s2
	s_mov_b32 s2, exec_lo
	s_barrier_signal -1
	s_barrier_wait -1
	ds_store_b64 v7, v[4:5]
	s_wait_dscnt 0x0
	s_barrier_signal -1
	s_barrier_wait -1
	v_cmpx_lt_u32_e32 1, v0
	s_cbranch_execz .LBB25_11
; %bb.8:
	v_add_nc_u32_e32 v8, -8, v1
	s_mov_b32 s3, exec_lo
	ds_load_b32 v8, v8
	s_wait_dscnt 0x0
	v_cmpx_eq_u32_e64 v6, v8
	s_cbranch_execz .LBB25_10
; %bb.9:
	v_add_nc_u32_e32 v8, -16, v7
	ds_load_b64 v[8:9], v8
	s_wait_dscnt 0x0
	v_pk_add_f32 v[4:5], v[4:5], v[8:9]
.LBB25_10:
	s_or_b32 exec_lo, exec_lo, s3
.LBB25_11:
	s_delay_alu instid0(SALU_CYCLE_1) | instskip(NEXT) | instid1(SALU_CYCLE_1)
	s_or_b32 exec_lo, exec_lo, s2
	s_mov_b32 s2, exec_lo
	s_barrier_signal -1
	s_barrier_wait -1
	ds_store_b64 v7, v[4:5]
	s_wait_dscnt 0x0
	s_barrier_signal -1
	s_barrier_wait -1
	v_cmpx_lt_u32_e32 3, v0
	s_cbranch_execz .LBB25_15
; %bb.12:
	v_add_nc_u32_e32 v8, -16, v1
	s_mov_b32 s3, exec_lo
	ds_load_b32 v8, v8
	s_wait_dscnt 0x0
	v_cmpx_eq_u32_e64 v6, v8
	s_cbranch_execz .LBB25_14
; %bb.13:
	v_subrev_nc_u32_e32 v8, 32, v7
	ds_load_b64 v[8:9], v8
	s_wait_dscnt 0x0
	v_pk_add_f32 v[4:5], v[4:5], v[8:9]
.LBB25_14:
	s_or_b32 exec_lo, exec_lo, s3
.LBB25_15:
	s_delay_alu instid0(SALU_CYCLE_1) | instskip(NEXT) | instid1(SALU_CYCLE_1)
	s_or_b32 exec_lo, exec_lo, s2
	s_mov_b32 s2, exec_lo
	s_barrier_signal -1
	s_barrier_wait -1
	ds_store_b64 v7, v[4:5]
	s_wait_dscnt 0x0
	s_barrier_signal -1
	s_barrier_wait -1
	v_cmpx_lt_u32_e32 7, v0
	s_cbranch_execz .LBB25_19
; %bb.16:
	v_subrev_nc_u32_e32 v8, 32, v1
	s_mov_b32 s3, exec_lo
	ds_load_b32 v8, v8
	s_wait_dscnt 0x0
	v_cmpx_eq_u32_e64 v6, v8
	s_cbranch_execz .LBB25_18
; %bb.17:
	v_subrev_nc_u32_e32 v8, 64, v7
	ds_load_b64 v[8:9], v8
	s_wait_dscnt 0x0
	v_pk_add_f32 v[4:5], v[4:5], v[8:9]
.LBB25_18:
	s_or_b32 exec_lo, exec_lo, s3
.LBB25_19:
	s_delay_alu instid0(SALU_CYCLE_1) | instskip(NEXT) | instid1(SALU_CYCLE_1)
	s_or_b32 exec_lo, exec_lo, s2
	s_mov_b32 s2, exec_lo
	s_barrier_signal -1
	s_barrier_wait -1
	ds_store_b64 v7, v[4:5]
	s_wait_dscnt 0x0
	s_barrier_signal -1
	s_barrier_wait -1
	v_cmpx_lt_u32_e32 15, v0
	s_cbranch_execz .LBB25_23
; %bb.20:
	v_subrev_nc_u32_e32 v8, 64, v1
	s_mov_b32 s3, exec_lo
	ds_load_b32 v8, v8
	s_wait_dscnt 0x0
	v_cmpx_eq_u32_e64 v6, v8
	s_cbranch_execz .LBB25_22
; %bb.21:
	v_add_nc_u32_e32 v8, 0xffffff80, v7
	ds_load_b64 v[8:9], v8
	s_wait_dscnt 0x0
	v_pk_add_f32 v[4:5], v[4:5], v[8:9]
.LBB25_22:
	s_or_b32 exec_lo, exec_lo, s3
.LBB25_23:
	s_delay_alu instid0(SALU_CYCLE_1) | instskip(NEXT) | instid1(SALU_CYCLE_1)
	s_or_b32 exec_lo, exec_lo, s2
	s_mov_b32 s2, exec_lo
	s_barrier_signal -1
	s_barrier_wait -1
	ds_store_b64 v7, v[4:5]
	s_wait_dscnt 0x0
	s_barrier_signal -1
	s_barrier_wait -1
	v_cmpx_lt_u32_e32 31, v0
	s_cbranch_execz .LBB25_27
; %bb.24:
	v_add_nc_u32_e32 v8, 0xffffff80, v1
	s_mov_b32 s3, exec_lo
	ds_load_b32 v8, v8
	s_wait_dscnt 0x0
	v_cmpx_eq_u32_e64 v6, v8
	s_cbranch_execz .LBB25_26
; %bb.25:
	v_add_nc_u32_e32 v8, 0xffffff00, v7
	ds_load_b64 v[8:9], v8
	s_wait_dscnt 0x0
	v_pk_add_f32 v[4:5], v[4:5], v[8:9]
.LBB25_26:
	s_or_b32 exec_lo, exec_lo, s3
.LBB25_27:
	s_delay_alu instid0(SALU_CYCLE_1) | instskip(NEXT) | instid1(SALU_CYCLE_1)
	s_or_b32 exec_lo, exec_lo, s2
	s_mov_b32 s2, exec_lo
	s_barrier_signal -1
	s_barrier_wait -1
	ds_store_b64 v7, v[4:5]
	s_wait_dscnt 0x0
	s_barrier_signal -1
	s_barrier_wait -1
	v_cmpx_lt_u32_e32 63, v0
	s_cbranch_execz .LBB25_31
; %bb.28:
	v_add_nc_u32_e32 v8, 0xffffff00, v1
	s_mov_b32 s3, exec_lo
	ds_load_b32 v8, v8
	s_wait_dscnt 0x0
	v_cmpx_eq_u32_e64 v6, v8
	s_cbranch_execz .LBB25_30
; %bb.29:
	v_add_nc_u32_e32 v8, 0xfffffe00, v7
	ds_load_b64 v[8:9], v8
	s_wait_dscnt 0x0
	v_pk_add_f32 v[4:5], v[4:5], v[8:9]
.LBB25_30:
	s_or_b32 exec_lo, exec_lo, s3
.LBB25_31:
	s_delay_alu instid0(SALU_CYCLE_1)
	s_or_b32 exec_lo, exec_lo, s2
	s_load_b64 s[2:3], s[0:1], 0x30
	s_wait_xcnt 0x0
	s_mov_b32 s0, exec_lo
	s_barrier_signal -1
	s_barrier_wait -1
	ds_store_b64 v7, v[4:5]
	s_wait_dscnt 0x0
	s_barrier_signal -1
	s_barrier_wait -1
	v_cmpx_lt_u32_e32 0x7f, v0
	s_cbranch_execz .LBB25_35
; %bb.32:
	v_add_nc_u32_e32 v8, 0xfffffe00, v1
	s_mov_b32 s1, exec_lo
	ds_load_b32 v8, v8
	s_wait_dscnt 0x0
	v_cmpx_eq_u32_e64 v6, v8
	s_cbranch_execz .LBB25_34
; %bb.33:
	v_add_nc_u32_e32 v8, 0xfffffc00, v7
	ds_load_b64 v[8:9], v8
	s_wait_dscnt 0x0
	v_pk_add_f32 v[4:5], v[4:5], v[8:9]
.LBB25_34:
	s_or_b32 exec_lo, exec_lo, s1
.LBB25_35:
	s_delay_alu instid0(SALU_CYCLE_1) | instskip(NEXT) | instid1(SALU_CYCLE_1)
	s_or_b32 exec_lo, exec_lo, s0
	s_mov_b32 s1, exec_lo
	s_barrier_signal -1
	s_barrier_wait -1
	ds_store_b64 v7, v[4:5]
	s_wait_dscnt 0x0
	s_barrier_signal -1
	s_barrier_wait -1
	v_cmpx_gt_u32_e32 0xff, v0
	s_cbranch_execz .LBB25_38
; %bb.36:
	ds_load_b32 v1, v1 offset:4
	v_cmp_lt_i32_e64 s0, -1, v6
	s_wait_dscnt 0x0
	v_cmp_ne_u32_e32 vcc_lo, v6, v1
	s_and_b32 s0, s0, vcc_lo
	s_delay_alu instid0(SALU_CYCLE_1)
	s_and_b32 exec_lo, exec_lo, s0
	s_cbranch_execz .LBB25_38
; %bb.37:
	v_dual_mov_b32 v7, 0 :: v_dual_mul_f32 v1, v5, -v3
	v_mul_f32_e32 v10, v2, v5
	s_wait_kmcnt 0x0
	s_delay_alu instid0(VALU_DEP_2) | instskip(NEXT) | instid1(VALU_DEP_2)
	v_lshl_add_u64 v[8:9], v[6:7], 3, s[2:3]
	v_dual_fmac_f32 v1, v2, v4 :: v_dual_fmac_f32 v10, v3, v4
	global_atomic_add_f32 v[8:9], v1, off scope:SCOPE_DEV
	s_wait_xcnt 0x0
	global_atomic_add_f32 v[8:9], v10, off offset:4 scope:SCOPE_DEV
.LBB25_38:
	s_wait_xcnt 0x0
	s_or_b32 exec_lo, exec_lo, s1
	v_cmp_eq_u32_e32 vcc_lo, 0xff, v0
	v_cmp_lt_i32_e64 s0, -1, v6
	s_and_b32 s0, vcc_lo, s0
	s_delay_alu instid0(SALU_CYCLE_1)
	s_and_b32 exec_lo, exec_lo, s0
	s_cbranch_execz .LBB25_40
; %bb.39:
	v_dual_mov_b32 v7, 0 :: v_dual_mul_f32 v8, v5, -v3
	v_mul_f32_e32 v5, v2, v5
	s_wait_kmcnt 0x0
	s_delay_alu instid0(VALU_DEP_2) | instskip(NEXT) | instid1(VALU_DEP_2)
	v_lshl_add_u64 v[0:1], v[6:7], 3, s[2:3]
	v_dual_fmac_f32 v8, v2, v4 :: v_dual_fmac_f32 v5, v3, v4
	global_atomic_add_f32 v[0:1], v8, off scope:SCOPE_DEV
	s_wait_xcnt 0x0
	global_atomic_add_f32 v[0:1], v5, off offset:4 scope:SCOPE_DEV
.LBB25_40:
	s_endpgm
	.section	.rodata,"a",@progbits
	.p2align	6, 0x0
	.amdhsa_kernel _ZN9rocsparseL19coomvn_atomic_loopsILj256ELj1Ei21rocsparse_complex_numIfES2_S2_S2_EEvlNS_24const_host_device_scalarIT5_EEPKT1_S8_PKT2_PKT3_PT4_21rocsparse_index_base_b
		.amdhsa_group_segment_fixed_size 3072
		.amdhsa_private_segment_fixed_size 0
		.amdhsa_kernarg_size 64
		.amdhsa_user_sgpr_count 2
		.amdhsa_user_sgpr_dispatch_ptr 0
		.amdhsa_user_sgpr_queue_ptr 0
		.amdhsa_user_sgpr_kernarg_segment_ptr 1
		.amdhsa_user_sgpr_dispatch_id 0
		.amdhsa_user_sgpr_kernarg_preload_length 0
		.amdhsa_user_sgpr_kernarg_preload_offset 0
		.amdhsa_user_sgpr_private_segment_size 0
		.amdhsa_wavefront_size32 1
		.amdhsa_uses_dynamic_stack 0
		.amdhsa_enable_private_segment 0
		.amdhsa_system_sgpr_workgroup_id_x 1
		.amdhsa_system_sgpr_workgroup_id_y 0
		.amdhsa_system_sgpr_workgroup_id_z 0
		.amdhsa_system_sgpr_workgroup_info 0
		.amdhsa_system_vgpr_workitem_id 0
		.amdhsa_next_free_vgpr 13
		.amdhsa_next_free_sgpr 20
		.amdhsa_named_barrier_count 0
		.amdhsa_reserve_vcc 1
		.amdhsa_float_round_mode_32 0
		.amdhsa_float_round_mode_16_64 0
		.amdhsa_float_denorm_mode_32 3
		.amdhsa_float_denorm_mode_16_64 3
		.amdhsa_fp16_overflow 0
		.amdhsa_memory_ordered 1
		.amdhsa_forward_progress 1
		.amdhsa_inst_pref_size 12
		.amdhsa_round_robin_scheduling 0
		.amdhsa_exception_fp_ieee_invalid_op 0
		.amdhsa_exception_fp_denorm_src 0
		.amdhsa_exception_fp_ieee_div_zero 0
		.amdhsa_exception_fp_ieee_overflow 0
		.amdhsa_exception_fp_ieee_underflow 0
		.amdhsa_exception_fp_ieee_inexact 0
		.amdhsa_exception_int_div_zero 0
	.end_amdhsa_kernel
	.section	.text._ZN9rocsparseL19coomvn_atomic_loopsILj256ELj1Ei21rocsparse_complex_numIfES2_S2_S2_EEvlNS_24const_host_device_scalarIT5_EEPKT1_S8_PKT2_PKT3_PT4_21rocsparse_index_base_b,"axG",@progbits,_ZN9rocsparseL19coomvn_atomic_loopsILj256ELj1Ei21rocsparse_complex_numIfES2_S2_S2_EEvlNS_24const_host_device_scalarIT5_EEPKT1_S8_PKT2_PKT3_PT4_21rocsparse_index_base_b,comdat
.Lfunc_end25:
	.size	_ZN9rocsparseL19coomvn_atomic_loopsILj256ELj1Ei21rocsparse_complex_numIfES2_S2_S2_EEvlNS_24const_host_device_scalarIT5_EEPKT1_S8_PKT2_PKT3_PT4_21rocsparse_index_base_b, .Lfunc_end25-_ZN9rocsparseL19coomvn_atomic_loopsILj256ELj1Ei21rocsparse_complex_numIfES2_S2_S2_EEvlNS_24const_host_device_scalarIT5_EEPKT1_S8_PKT2_PKT3_PT4_21rocsparse_index_base_b
                                        ; -- End function
	.set _ZN9rocsparseL19coomvn_atomic_loopsILj256ELj1Ei21rocsparse_complex_numIfES2_S2_S2_EEvlNS_24const_host_device_scalarIT5_EEPKT1_S8_PKT2_PKT3_PT4_21rocsparse_index_base_b.num_vgpr, 13
	.set _ZN9rocsparseL19coomvn_atomic_loopsILj256ELj1Ei21rocsparse_complex_numIfES2_S2_S2_EEvlNS_24const_host_device_scalarIT5_EEPKT1_S8_PKT2_PKT3_PT4_21rocsparse_index_base_b.num_agpr, 0
	.set _ZN9rocsparseL19coomvn_atomic_loopsILj256ELj1Ei21rocsparse_complex_numIfES2_S2_S2_EEvlNS_24const_host_device_scalarIT5_EEPKT1_S8_PKT2_PKT3_PT4_21rocsparse_index_base_b.numbered_sgpr, 20
	.set _ZN9rocsparseL19coomvn_atomic_loopsILj256ELj1Ei21rocsparse_complex_numIfES2_S2_S2_EEvlNS_24const_host_device_scalarIT5_EEPKT1_S8_PKT2_PKT3_PT4_21rocsparse_index_base_b.num_named_barrier, 0
	.set _ZN9rocsparseL19coomvn_atomic_loopsILj256ELj1Ei21rocsparse_complex_numIfES2_S2_S2_EEvlNS_24const_host_device_scalarIT5_EEPKT1_S8_PKT2_PKT3_PT4_21rocsparse_index_base_b.private_seg_size, 0
	.set _ZN9rocsparseL19coomvn_atomic_loopsILj256ELj1Ei21rocsparse_complex_numIfES2_S2_S2_EEvlNS_24const_host_device_scalarIT5_EEPKT1_S8_PKT2_PKT3_PT4_21rocsparse_index_base_b.uses_vcc, 1
	.set _ZN9rocsparseL19coomvn_atomic_loopsILj256ELj1Ei21rocsparse_complex_numIfES2_S2_S2_EEvlNS_24const_host_device_scalarIT5_EEPKT1_S8_PKT2_PKT3_PT4_21rocsparse_index_base_b.uses_flat_scratch, 0
	.set _ZN9rocsparseL19coomvn_atomic_loopsILj256ELj1Ei21rocsparse_complex_numIfES2_S2_S2_EEvlNS_24const_host_device_scalarIT5_EEPKT1_S8_PKT2_PKT3_PT4_21rocsparse_index_base_b.has_dyn_sized_stack, 0
	.set _ZN9rocsparseL19coomvn_atomic_loopsILj256ELj1Ei21rocsparse_complex_numIfES2_S2_S2_EEvlNS_24const_host_device_scalarIT5_EEPKT1_S8_PKT2_PKT3_PT4_21rocsparse_index_base_b.has_recursion, 0
	.set _ZN9rocsparseL19coomvn_atomic_loopsILj256ELj1Ei21rocsparse_complex_numIfES2_S2_S2_EEvlNS_24const_host_device_scalarIT5_EEPKT1_S8_PKT2_PKT3_PT4_21rocsparse_index_base_b.has_indirect_call, 0
	.section	.AMDGPU.csdata,"",@progbits
; Kernel info:
; codeLenInByte = 1488
; TotalNumSgprs: 22
; NumVgprs: 13
; ScratchSize: 0
; MemoryBound: 0
; FloatMode: 240
; IeeeMode: 1
; LDSByteSize: 3072 bytes/workgroup (compile time only)
; SGPRBlocks: 0
; VGPRBlocks: 0
; NumSGPRsForWavesPerEU: 22
; NumVGPRsForWavesPerEU: 13
; NamedBarCnt: 0
; Occupancy: 16
; WaveLimiterHint : 1
; COMPUTE_PGM_RSRC2:SCRATCH_EN: 0
; COMPUTE_PGM_RSRC2:USER_SGPR: 2
; COMPUTE_PGM_RSRC2:TRAP_HANDLER: 0
; COMPUTE_PGM_RSRC2:TGID_X_EN: 1
; COMPUTE_PGM_RSRC2:TGID_Y_EN: 0
; COMPUTE_PGM_RSRC2:TGID_Z_EN: 0
; COMPUTE_PGM_RSRC2:TIDIG_COMP_CNT: 0
	.section	.text._ZN9rocsparseL19coomvn_atomic_loopsILj256ELj2Ei21rocsparse_complex_numIfES2_S2_S2_EEvlNS_24const_host_device_scalarIT5_EEPKT1_S8_PKT2_PKT3_PT4_21rocsparse_index_base_b,"axG",@progbits,_ZN9rocsparseL19coomvn_atomic_loopsILj256ELj2Ei21rocsparse_complex_numIfES2_S2_S2_EEvlNS_24const_host_device_scalarIT5_EEPKT1_S8_PKT2_PKT3_PT4_21rocsparse_index_base_b,comdat
	.globl	_ZN9rocsparseL19coomvn_atomic_loopsILj256ELj2Ei21rocsparse_complex_numIfES2_S2_S2_EEvlNS_24const_host_device_scalarIT5_EEPKT1_S8_PKT2_PKT3_PT4_21rocsparse_index_base_b ; -- Begin function _ZN9rocsparseL19coomvn_atomic_loopsILj256ELj2Ei21rocsparse_complex_numIfES2_S2_S2_EEvlNS_24const_host_device_scalarIT5_EEPKT1_S8_PKT2_PKT3_PT4_21rocsparse_index_base_b
	.p2align	8
	.type	_ZN9rocsparseL19coomvn_atomic_loopsILj256ELj2Ei21rocsparse_complex_numIfES2_S2_S2_EEvlNS_24const_host_device_scalarIT5_EEPKT1_S8_PKT2_PKT3_PT4_21rocsparse_index_base_b,@function
_ZN9rocsparseL19coomvn_atomic_loopsILj256ELj2Ei21rocsparse_complex_numIfES2_S2_S2_EEvlNS_24const_host_device_scalarIT5_EEPKT1_S8_PKT2_PKT3_PT4_21rocsparse_index_base_b: ; @_ZN9rocsparseL19coomvn_atomic_loopsILj256ELj2Ei21rocsparse_complex_numIfES2_S2_S2_EEvlNS_24const_host_device_scalarIT5_EEPKT1_S8_PKT2_PKT3_PT4_21rocsparse_index_base_b
; %bb.0:
	s_clause 0x1
	s_load_b64 s[24:25], s[0:1], 0x38
	s_load_b128 s[20:23], s[0:1], 0x0
	v_mov_b32_e32 v5, 0
	s_or_b64 s[2:3], s[0:1], 8
	s_wait_kmcnt 0x0
	s_bitcmp1_b32 s25, 0
	s_cselect_b32 s3, s3, s23
	s_cselect_b32 s2, s2, s22
	flat_load_b64 v[2:3], v5, s[2:3]
	s_wait_loadcnt_dscnt 0x0
	v_cmp_neq_f32_e32 vcc_lo, 0, v2
	v_cmp_neq_f32_e64 s2, 0, v3
	s_or_b32 s2, vcc_lo, s2
	s_delay_alu instid0(SALU_CYCLE_1)
	s_and_saveexec_b32 s3, s2
	s_cbranch_execz .LBB26_92
; %bb.1:
	s_load_b256 s[12:19], s[0:1], 0x10
	s_bfe_u32 s2, ttmp6, 0x4000c
	s_and_b32 s3, ttmp6, 15
	s_add_co_i32 s2, s2, 1
	s_getreg_b32 s4, hwreg(HW_REG_IB_STS2, 6, 4)
	s_mul_i32 s2, ttmp9, s2
	v_mov_b64_e32 v[6:7], 0
	s_add_co_i32 s3, s3, s2
	s_cmp_eq_u32 s4, 0
	v_mov_b32_e32 v12, -1
	s_cselect_b32 s2, ttmp9, s3
	s_delay_alu instid0(SALU_CYCLE_1) | instskip(SKIP_1) | instid1(VALU_DEP_1)
	v_lshl_or_b32 v4, s2, 9, v0
	s_mov_b32 s2, exec_lo
	v_lshlrev_b64_e32 v[10:11], 2, v[4:5]
	s_wait_kmcnt 0x0
	v_lshl_add_u64 v[8:9], v[4:5], 3, s[16:17]
	v_cmpx_gt_i64_e64 s[20:21], v[4:5]
	s_cbranch_execz .LBB26_3
; %bb.2:
	s_delay_alu instid0(VALU_DEP_3)
	v_add_nc_u64_e32 v[6:7], s[14:15], v[10:11]
	global_load_b32 v1, v[6:7], off th:TH_LOAD_NT
	s_wait_xcnt 0x0
	v_add_nc_u64_e32 v[6:7], s[12:13], v[10:11]
	s_wait_loadcnt 0x0
	v_subrev_nc_u32_e32 v1, s24, v1
	global_load_b64 v[14:15], v1, s[18:19] scale_offset
	global_load_b64 v[16:17], v[8:9], off th:TH_LOAD_NT
	global_load_b32 v12, v[6:7], off th:TH_LOAD_NT
	s_wait_loadcnt 0x1
	s_wait_xcnt 0x0
	v_pk_mul_f32 v[6:7], v[14:15], v[16:17] op_sel:[1,1] op_sel_hi:[1,0] neg_lo:[0,1]
	s_wait_loadcnt 0x0
	v_subrev_nc_u32_e32 v12, s24, v12
	s_delay_alu instid0(VALU_DEP_2)
	v_pk_fma_f32 v[6:7], v[16:17], v[14:15], v[6:7] op_sel_hi:[1,0,1]
.LBB26_3:
	s_or_b32 exec_lo, exec_lo, s2
	v_dual_lshlrev_b32 v13, 2, v0 :: v_dual_lshlrev_b32 v14, 3, v0
	v_cmp_eq_u32_e64 s8, 0, v0
	v_cmp_ne_u32_e32 vcc_lo, 0, v0
	ds_store_b32 v13, v12 offset:2048
	ds_store_b64 v14, v[6:7]
	v_or_b32_e32 v1, 0x800, v13
	s_wait_dscnt 0x0
	s_barrier_signal -1
	s_barrier_wait -1
	s_delay_alu instid0(VALU_DEP_1)
	v_add_nc_u32_e32 v15, -4, v1
	s_and_saveexec_b32 s3, vcc_lo
	s_cbranch_execz .LBB26_7
; %bb.4:
	ds_load_b32 v13, v15
	s_mov_b32 s4, exec_lo
	s_wait_dscnt 0x0
	v_cmpx_eq_u32_e64 v12, v13
	s_cbranch_execz .LBB26_6
; %bb.5:
	v_add_nc_u32_e32 v13, -8, v14
	ds_load_b64 v[16:17], v13
	s_wait_dscnt 0x0
	v_pk_add_f32 v[6:7], v[6:7], v[16:17]
.LBB26_6:
	s_or_b32 exec_lo, exec_lo, s4
.LBB26_7:
	s_delay_alu instid0(SALU_CYCLE_1)
	s_or_b32 exec_lo, exec_lo, s3
	v_cmp_lt_u32_e64 s2, 1, v0
	v_add_nc_u32_e32 v16, -8, v1
	s_barrier_signal -1
	s_barrier_wait -1
	ds_store_b64 v14, v[6:7]
	s_wait_dscnt 0x0
	s_barrier_signal -1
	s_barrier_wait -1
	s_and_saveexec_b32 s4, s2
	s_cbranch_execz .LBB26_11
; %bb.8:
	ds_load_b32 v13, v16
	s_mov_b32 s5, exec_lo
	s_wait_dscnt 0x0
	v_cmpx_eq_u32_e64 v12, v13
	s_cbranch_execz .LBB26_10
; %bb.9:
	v_add_nc_u32_e32 v13, -16, v14
	ds_load_b64 v[18:19], v13
	s_wait_dscnt 0x0
	v_pk_add_f32 v[6:7], v[6:7], v[18:19]
.LBB26_10:
	s_or_b32 exec_lo, exec_lo, s5
.LBB26_11:
	s_delay_alu instid0(SALU_CYCLE_1)
	s_or_b32 exec_lo, exec_lo, s4
	v_cmp_lt_u32_e64 s3, 3, v0
	v_add_nc_u32_e32 v17, -16, v1
	s_barrier_signal -1
	s_barrier_wait -1
	ds_store_b64 v14, v[6:7]
	s_wait_dscnt 0x0
	s_barrier_signal -1
	s_barrier_wait -1
	s_and_saveexec_b32 s5, s3
	s_cbranch_execz .LBB26_15
; %bb.12:
	ds_load_b32 v13, v17
	s_mov_b32 s6, exec_lo
	s_wait_dscnt 0x0
	v_cmpx_eq_u32_e64 v12, v13
	s_cbranch_execz .LBB26_14
; %bb.13:
	v_subrev_nc_u32_e32 v13, 32, v14
	ds_load_b64 v[18:19], v13
	s_wait_dscnt 0x0
	v_pk_add_f32 v[6:7], v[6:7], v[18:19]
.LBB26_14:
	s_or_b32 exec_lo, exec_lo, s6
.LBB26_15:
	s_delay_alu instid0(SALU_CYCLE_1)
	s_or_b32 exec_lo, exec_lo, s5
	v_cmp_lt_u32_e64 s4, 7, v0
	v_subrev_nc_u32_e32 v18, 32, v1
	s_barrier_signal -1
	s_barrier_wait -1
	ds_store_b64 v14, v[6:7]
	s_wait_dscnt 0x0
	s_barrier_signal -1
	s_barrier_wait -1
	s_and_saveexec_b32 s6, s4
	s_cbranch_execz .LBB26_19
; %bb.16:
	ds_load_b32 v13, v18
	s_mov_b32 s7, exec_lo
	s_wait_dscnt 0x0
	v_cmpx_eq_u32_e64 v12, v13
	s_cbranch_execz .LBB26_18
; %bb.17:
	v_subrev_nc_u32_e32 v13, 64, v14
	ds_load_b64 v[20:21], v13
	s_wait_dscnt 0x0
	v_pk_add_f32 v[6:7], v[6:7], v[20:21]
.LBB26_18:
	s_or_b32 exec_lo, exec_lo, s7
.LBB26_19:
	s_delay_alu instid0(SALU_CYCLE_1)
	s_or_b32 exec_lo, exec_lo, s6
	v_cmp_lt_u32_e64 s5, 15, v0
	v_subrev_nc_u32_e32 v19, 64, v1
	s_barrier_signal -1
	s_barrier_wait -1
	ds_store_b64 v14, v[6:7]
	s_wait_dscnt 0x0
	s_barrier_signal -1
	s_barrier_wait -1
	s_and_saveexec_b32 s7, s5
	s_cbranch_execz .LBB26_23
; %bb.20:
	ds_load_b32 v13, v19
	s_mov_b32 s9, exec_lo
	s_wait_dscnt 0x0
	v_cmpx_eq_u32_e64 v12, v13
	s_cbranch_execz .LBB26_22
; %bb.21:
	v_add_nc_u32_e32 v13, 0xffffff80, v14
	ds_load_b64 v[20:21], v13
	s_wait_dscnt 0x0
	v_pk_add_f32 v[6:7], v[6:7], v[20:21]
.LBB26_22:
	s_or_b32 exec_lo, exec_lo, s9
.LBB26_23:
	s_delay_alu instid0(SALU_CYCLE_1)
	s_or_b32 exec_lo, exec_lo, s7
	v_cmp_lt_u32_e64 s6, 31, v0
	v_add_nc_u32_e32 v20, 0xffffff80, v1
	s_barrier_signal -1
	s_barrier_wait -1
	ds_store_b64 v14, v[6:7]
	s_wait_dscnt 0x0
	s_barrier_signal -1
	s_barrier_wait -1
	s_and_saveexec_b32 s9, s6
	s_cbranch_execz .LBB26_27
; %bb.24:
	ds_load_b32 v13, v20
	s_mov_b32 s10, exec_lo
	s_wait_dscnt 0x0
	v_cmpx_eq_u32_e64 v12, v13
	s_cbranch_execz .LBB26_26
; %bb.25:
	v_add_nc_u32_e32 v13, 0xffffff00, v14
	ds_load_b64 v[22:23], v13
	s_wait_dscnt 0x0
	v_pk_add_f32 v[6:7], v[6:7], v[22:23]
.LBB26_26:
	s_or_b32 exec_lo, exec_lo, s10
.LBB26_27:
	s_delay_alu instid0(SALU_CYCLE_1)
	s_or_b32 exec_lo, exec_lo, s9
	v_cmp_lt_u32_e64 s7, 63, v0
	v_add_nc_u32_e32 v21, 0xffffff00, v1
	s_barrier_signal -1
	s_barrier_wait -1
	ds_store_b64 v14, v[6:7]
	s_wait_dscnt 0x0
	s_barrier_signal -1
	s_barrier_wait -1
	s_and_saveexec_b32 s10, s7
	s_cbranch_execz .LBB26_31
; %bb.28:
	ds_load_b32 v13, v21
	s_mov_b32 s11, exec_lo
	s_wait_dscnt 0x0
	v_cmpx_eq_u32_e64 v12, v13
	s_cbranch_execz .LBB26_30
; %bb.29:
	v_add_nc_u32_e32 v13, 0xfffffe00, v14
	ds_load_b64 v[22:23], v13
	s_wait_dscnt 0x0
	v_pk_add_f32 v[6:7], v[6:7], v[22:23]
.LBB26_30:
	s_or_b32 exec_lo, exec_lo, s11
.LBB26_31:
	s_delay_alu instid0(SALU_CYCLE_1)
	s_or_b32 exec_lo, exec_lo, s10
	s_load_b64 s[16:17], s[0:1], 0x30
	s_wait_xcnt 0x0
	v_cmp_lt_u32_e64 s0, 0x7f, v0
	v_add_nc_u32_e32 v22, 0xfffffe00, v1
	s_barrier_signal -1
	s_barrier_wait -1
	ds_store_b64 v14, v[6:7]
	s_wait_dscnt 0x0
	s_barrier_signal -1
	s_barrier_wait -1
	s_and_saveexec_b32 s9, s0
	s_cbranch_execz .LBB26_35
; %bb.32:
	ds_load_b32 v13, v22
	s_mov_b32 s10, exec_lo
	s_wait_dscnt 0x0
	v_cmpx_eq_u32_e64 v12, v13
	s_cbranch_execz .LBB26_34
; %bb.33:
	v_add_nc_u32_e32 v13, 0xfffffc00, v14
	ds_load_b64 v[24:25], v13
	s_wait_dscnt 0x0
	v_pk_add_f32 v[6:7], v[6:7], v[24:25]
.LBB26_34:
	s_or_b32 exec_lo, exec_lo, s10
.LBB26_35:
	s_delay_alu instid0(SALU_CYCLE_1)
	s_or_b32 exec_lo, exec_lo, s9
	v_cmp_gt_u32_e64 s1, 0xff, v0
	s_barrier_signal -1
	s_barrier_wait -1
	ds_store_b64 v14, v[6:7]
	s_wait_dscnt 0x0
	s_barrier_signal -1
	s_barrier_wait -1
	s_and_saveexec_b32 s11, s1
	s_cbranch_execz .LBB26_38
; %bb.36:
	ds_load_b32 v13, v1 offset:4
	v_cmp_lt_i32_e64 s10, -1, v12
	s_wait_dscnt 0x0
	v_cmp_ne_u32_e64 s9, v12, v13
	s_and_b32 s9, s10, s9
	s_delay_alu instid0(SALU_CYCLE_1)
	s_and_b32 exec_lo, exec_lo, s9
	s_cbranch_execz .LBB26_38
; %bb.37:
	v_dual_mov_b32 v13, 0 :: v_dual_mul_f32 v23, v7, -v3
	v_mul_f32_e32 v7, v2, v7
	s_wait_kmcnt 0x0
	s_delay_alu instid0(VALU_DEP_2) | instskip(NEXT) | instid1(VALU_DEP_3)
	v_lshl_add_u64 v[12:13], v[12:13], 3, s[16:17]
	v_fmac_f32_e32 v23, v2, v6
	s_delay_alu instid0(VALU_DEP_3)
	v_fmac_f32_e32 v7, v3, v6
	global_atomic_add_f32 v[12:13], v23, off scope:SCOPE_DEV
	s_wait_xcnt 0x0
	global_atomic_add_f32 v[12:13], v7, off offset:4 scope:SCOPE_DEV
.LBB26_38:
	s_wait_xcnt 0x0
	s_or_b32 exec_lo, exec_lo, s11
	v_add_nc_u64_e32 v[4:5], 0x100, v[4:5]
	v_mov_b32_e32 v6, -1
	s_delay_alu instid0(VALU_DEP_2)
	v_cmp_gt_i64_e64 s9, s[20:21], v[4:5]
	v_mov_b64_e32 v[4:5], 0
	s_and_saveexec_b32 s10, s9
	s_cbranch_execz .LBB26_40
; %bb.39:
	v_add_nc_u64_e32 v[4:5], s[14:15], v[10:11]
	global_load_b32 v4, v[4:5], off offset:1024 th:TH_LOAD_NT
	s_wait_loadcnt 0x0
	v_subrev_nc_u32_e32 v6, s24, v4
	s_wait_xcnt 0x0
	v_add_nc_u64_e32 v[4:5], s[12:13], v[10:11]
	global_load_b64 v[10:11], v6, s[18:19] scale_offset
	global_load_b64 v[12:13], v[8:9], off offset:2048 th:TH_LOAD_NT
	global_load_b32 v7, v[4:5], off offset:1024 th:TH_LOAD_NT
	s_wait_loadcnt 0x1
	s_wait_xcnt 0x0
	v_pk_mul_f32 v[4:5], v[10:11], v[12:13] op_sel:[1,1] op_sel_hi:[1,0] neg_lo:[0,1]
	s_wait_loadcnt 0x0
	v_subrev_nc_u32_e32 v6, s24, v7
	s_delay_alu instid0(VALU_DEP_2)
	v_pk_fma_f32 v[4:5], v[12:13], v[10:11], v[4:5] op_sel_hi:[1,0,1]
.LBB26_40:
	s_or_b32 exec_lo, exec_lo, s10
	s_and_saveexec_b32 s9, s8
	s_cbranch_execz .LBB26_55
; %bb.41:
	v_mov_b32_e32 v7, 0
	s_mov_b32 s11, exec_lo
	ds_load_b32 v7, v7 offset:3068
	s_wait_dscnt 0x0
	v_readfirstlane_b32 s10, v7
	v_cmpx_ne_u32_e64 v6, v7
	s_xor_b32 s12, exec_lo, s11
	s_cbranch_execz .LBB26_52
; %bb.42:
	s_cmp_lt_i32 s10, 0
	s_cbranch_scc1 .LBB26_52
; %bb.43:
	v_mov_b32_e32 v7, 0
	s_mov_b32 s8, exec_lo
	s_brev_b32 s13, 1
	ds_load_b64 v[8:9], v7 offset:2040
	s_wait_dscnt 0x0
	v_mul_f32_e64 v7, v9, -v3
	s_delay_alu instid0(VALU_DEP_1)
	v_fmac_f32_e32 v7, v2, v8
.LBB26_44:                              ; =>This Inner Loop Header: Depth=1
	s_ctz_i32_b32 s11, s8
	s_delay_alu instid0(VALU_DEP_1) | instid1(SALU_CYCLE_1)
	v_readlane_b32 s14, v7, s11
	s_lshl_b32 s11, 1, s11
	s_delay_alu instid0(SALU_CYCLE_1) | instskip(NEXT) | instid1(SALU_CYCLE_1)
	s_and_not1_b32 s8, s8, s11
	s_cmp_lg_u32 s8, 0
	s_add_f32 s13, s13, s14
	s_cbranch_scc1 .LBB26_44
; %bb.45:
	v_mbcnt_lo_u32_b32 v7, exec_lo, 0
	s_mov_b32 s11, 0
	s_delay_alu instid0(SALU_CYCLE_1) | instskip(SKIP_4) | instid1(SALU_CYCLE_1)
	s_lshl_b64 s[10:11], s[10:11], 3
	s_wait_kmcnt 0x0
	s_add_nc_u64 s[10:11], s[16:17], s[10:11]
	v_cmp_eq_u32_e64 s8, 0, v7
	s_and_saveexec_b32 s14, s8
	s_xor_b32 s8, exec_lo, s14
	s_cbranch_execz .LBB26_47
; %bb.46:
	v_dual_mov_b32 v7, 0 :: v_dual_mov_b32 v10, s13
	global_atomic_add_f32 v7, v10, s[10:11] scope:SCOPE_DEV
.LBB26_47:
	s_wait_xcnt 0x0
	s_or_b32 exec_lo, exec_lo, s8
	v_mul_f32_e32 v7, v2, v9
	s_mov_b32 s8, exec_lo
	s_brev_b32 s13, 1
	s_delay_alu instid0(VALU_DEP_1)
	v_fmac_f32_e32 v7, v3, v8
.LBB26_48:                              ; =>This Inner Loop Header: Depth=1
	s_ctz_i32_b32 s14, s8
	s_delay_alu instid0(VALU_DEP_1) | instid1(SALU_CYCLE_1)
	v_readlane_b32 s15, v7, s14
	s_lshl_b32 s14, 1, s14
	s_delay_alu instid0(SALU_CYCLE_1) | instskip(NEXT) | instid1(SALU_CYCLE_1)
	s_and_not1_b32 s8, s8, s14
	s_cmp_lg_u32 s8, 0
	s_add_f32 s13, s13, s15
	s_cbranch_scc1 .LBB26_48
; %bb.49:
	v_mbcnt_lo_u32_b32 v7, exec_lo, 0
	s_delay_alu instid0(VALU_DEP_1) | instskip(SKIP_1) | instid1(SALU_CYCLE_1)
	v_cmp_eq_u32_e64 s8, 0, v7
	s_and_saveexec_b32 s14, s8
	s_xor_b32 s8, exec_lo, s14
	s_cbranch_execz .LBB26_51
; %bb.50:
	v_dual_mov_b32 v7, 0 :: v_dual_mov_b32 v8, s13
	global_atomic_add_f32 v7, v8, s[10:11] offset:4 scope:SCOPE_DEV
.LBB26_51:
	s_wait_xcnt 0x0
	s_or_b32 exec_lo, exec_lo, s8
.LBB26_52:
	s_and_not1_saveexec_b32 s8, s12
	s_cbranch_execz .LBB26_54
; %bb.53:
	v_mov_b32_e32 v7, 0
	ds_load_b64 v[8:9], v7 offset:2040
	s_wait_dscnt 0x0
	v_pk_add_f32 v[4:5], v[4:5], v[8:9]
.LBB26_54:
	s_or_b32 exec_lo, exec_lo, s8
.LBB26_55:
	s_delay_alu instid0(SALU_CYCLE_1)
	s_or_b32 exec_lo, exec_lo, s9
	s_wait_storecnt 0x0
	s_barrier_signal -1
	s_barrier_wait -1
	ds_store_b32 v1, v6
	ds_store_b64 v14, v[4:5]
	s_wait_dscnt 0x0
	s_barrier_signal -1
	s_barrier_wait -1
	s_and_saveexec_b32 s8, vcc_lo
	s_cbranch_execz .LBB26_59
; %bb.56:
	ds_load_b32 v7, v15
	s_mov_b32 s9, exec_lo
	s_wait_dscnt 0x0
	v_cmpx_eq_u32_e64 v6, v7
	s_cbranch_execz .LBB26_58
; %bb.57:
	v_add_nc_u32_e32 v7, -8, v14
	ds_load_b64 v[8:9], v7
	s_wait_dscnt 0x0
	v_pk_add_f32 v[4:5], v[4:5], v[8:9]
.LBB26_58:
	s_or_b32 exec_lo, exec_lo, s9
.LBB26_59:
	s_delay_alu instid0(SALU_CYCLE_1)
	s_or_b32 exec_lo, exec_lo, s8
	s_barrier_signal -1
	s_barrier_wait -1
	ds_store_b64 v14, v[4:5]
	s_wait_dscnt 0x0
	s_barrier_signal -1
	s_barrier_wait -1
	s_and_saveexec_b32 s8, s2
	s_cbranch_execz .LBB26_63
; %bb.60:
	ds_load_b32 v7, v16
	s_mov_b32 s2, exec_lo
	s_wait_dscnt 0x0
	v_cmpx_eq_u32_e64 v6, v7
	s_cbranch_execz .LBB26_62
; %bb.61:
	v_add_nc_u32_e32 v7, -16, v14
	ds_load_b64 v[8:9], v7
	s_wait_dscnt 0x0
	v_pk_add_f32 v[4:5], v[4:5], v[8:9]
.LBB26_62:
	s_or_b32 exec_lo, exec_lo, s2
.LBB26_63:
	s_delay_alu instid0(SALU_CYCLE_1)
	s_or_b32 exec_lo, exec_lo, s8
	s_barrier_signal -1
	s_barrier_wait -1
	ds_store_b64 v14, v[4:5]
	s_wait_dscnt 0x0
	s_barrier_signal -1
	s_barrier_wait -1
	s_and_saveexec_b32 s2, s3
	s_cbranch_execz .LBB26_67
; %bb.64:
	ds_load_b32 v7, v17
	s_mov_b32 s3, exec_lo
	s_wait_dscnt 0x0
	v_cmpx_eq_u32_e64 v6, v7
	s_cbranch_execz .LBB26_66
; %bb.65:
	v_subrev_nc_u32_e32 v7, 32, v14
	ds_load_b64 v[8:9], v7
	s_wait_dscnt 0x0
	v_pk_add_f32 v[4:5], v[4:5], v[8:9]
.LBB26_66:
	s_or_b32 exec_lo, exec_lo, s3
.LBB26_67:
	s_delay_alu instid0(SALU_CYCLE_1)
	s_or_b32 exec_lo, exec_lo, s2
	s_barrier_signal -1
	s_barrier_wait -1
	ds_store_b64 v14, v[4:5]
	s_wait_dscnt 0x0
	s_barrier_signal -1
	s_barrier_wait -1
	s_and_saveexec_b32 s2, s4
	s_cbranch_execz .LBB26_71
; %bb.68:
	ds_load_b32 v7, v18
	s_mov_b32 s3, exec_lo
	s_wait_dscnt 0x0
	v_cmpx_eq_u32_e64 v6, v7
	s_cbranch_execz .LBB26_70
; %bb.69:
	v_subrev_nc_u32_e32 v7, 64, v14
	ds_load_b64 v[8:9], v7
	s_wait_dscnt 0x0
	v_pk_add_f32 v[4:5], v[4:5], v[8:9]
.LBB26_70:
	s_or_b32 exec_lo, exec_lo, s3
.LBB26_71:
	s_delay_alu instid0(SALU_CYCLE_1)
	s_or_b32 exec_lo, exec_lo, s2
	s_barrier_signal -1
	s_barrier_wait -1
	ds_store_b64 v14, v[4:5]
	s_wait_dscnt 0x0
	s_barrier_signal -1
	s_barrier_wait -1
	s_and_saveexec_b32 s2, s5
	s_cbranch_execz .LBB26_75
; %bb.72:
	ds_load_b32 v7, v19
	s_mov_b32 s3, exec_lo
	s_wait_dscnt 0x0
	v_cmpx_eq_u32_e64 v6, v7
	s_cbranch_execz .LBB26_74
; %bb.73:
	v_add_nc_u32_e32 v7, 0xffffff80, v14
	ds_load_b64 v[8:9], v7
	s_wait_dscnt 0x0
	v_pk_add_f32 v[4:5], v[4:5], v[8:9]
.LBB26_74:
	s_or_b32 exec_lo, exec_lo, s3
.LBB26_75:
	s_delay_alu instid0(SALU_CYCLE_1)
	s_or_b32 exec_lo, exec_lo, s2
	s_barrier_signal -1
	s_barrier_wait -1
	ds_store_b64 v14, v[4:5]
	s_wait_dscnt 0x0
	s_barrier_signal -1
	s_barrier_wait -1
	s_and_saveexec_b32 s2, s6
	s_cbranch_execz .LBB26_79
; %bb.76:
	ds_load_b32 v7, v20
	s_mov_b32 s3, exec_lo
	s_wait_dscnt 0x0
	v_cmpx_eq_u32_e64 v6, v7
	s_cbranch_execz .LBB26_78
; %bb.77:
	v_add_nc_u32_e32 v7, 0xffffff00, v14
	ds_load_b64 v[8:9], v7
	s_wait_dscnt 0x0
	v_pk_add_f32 v[4:5], v[4:5], v[8:9]
.LBB26_78:
	s_or_b32 exec_lo, exec_lo, s3
.LBB26_79:
	;; [unrolled: 24-line block ×4, first 2 shown]
	s_delay_alu instid0(SALU_CYCLE_1)
	s_or_b32 exec_lo, exec_lo, s2
	s_barrier_signal -1
	s_barrier_wait -1
	ds_store_b64 v14, v[4:5]
	s_wait_dscnt 0x0
	s_barrier_signal -1
	s_barrier_wait -1
	s_and_saveexec_b32 s2, s1
	s_cbranch_execz .LBB26_90
; %bb.88:
	ds_load_b32 v1, v1 offset:4
	v_cmp_lt_i32_e64 s0, -1, v6
	s_wait_dscnt 0x0
	v_cmp_ne_u32_e32 vcc_lo, v6, v1
	s_and_b32 s0, s0, vcc_lo
	s_delay_alu instid0(SALU_CYCLE_1)
	s_and_b32 exec_lo, exec_lo, s0
	s_cbranch_execz .LBB26_90
; %bb.89:
	v_dual_mov_b32 v7, 0 :: v_dual_mul_f32 v1, v5, -v3
	v_mul_f32_e32 v10, v2, v5
	s_wait_kmcnt 0x0
	s_delay_alu instid0(VALU_DEP_2) | instskip(NEXT) | instid1(VALU_DEP_2)
	v_lshl_add_u64 v[8:9], v[6:7], 3, s[16:17]
	v_dual_fmac_f32 v1, v2, v4 :: v_dual_fmac_f32 v10, v3, v4
	global_atomic_add_f32 v[8:9], v1, off scope:SCOPE_DEV
	s_wait_xcnt 0x0
	global_atomic_add_f32 v[8:9], v10, off offset:4 scope:SCOPE_DEV
.LBB26_90:
	s_wait_xcnt 0x0
	s_or_b32 exec_lo, exec_lo, s2
	v_cmp_eq_u32_e32 vcc_lo, 0xff, v0
	v_cmp_lt_i32_e64 s0, -1, v6
	s_and_b32 s0, vcc_lo, s0
	s_delay_alu instid0(SALU_CYCLE_1)
	s_and_b32 exec_lo, exec_lo, s0
	s_cbranch_execz .LBB26_92
; %bb.91:
	v_dual_mov_b32 v7, 0 :: v_dual_mul_f32 v8, v5, -v3
	v_mul_f32_e32 v5, v2, v5
	s_wait_kmcnt 0x0
	s_delay_alu instid0(VALU_DEP_2) | instskip(NEXT) | instid1(VALU_DEP_2)
	v_lshl_add_u64 v[0:1], v[6:7], 3, s[16:17]
	v_dual_fmac_f32 v8, v2, v4 :: v_dual_fmac_f32 v5, v3, v4
	global_atomic_add_f32 v[0:1], v8, off scope:SCOPE_DEV
	s_wait_xcnt 0x0
	global_atomic_add_f32 v[0:1], v5, off offset:4 scope:SCOPE_DEV
.LBB26_92:
	s_endpgm
	.section	.rodata,"a",@progbits
	.p2align	6, 0x0
	.amdhsa_kernel _ZN9rocsparseL19coomvn_atomic_loopsILj256ELj2Ei21rocsparse_complex_numIfES2_S2_S2_EEvlNS_24const_host_device_scalarIT5_EEPKT1_S8_PKT2_PKT3_PT4_21rocsparse_index_base_b
		.amdhsa_group_segment_fixed_size 3072
		.amdhsa_private_segment_fixed_size 0
		.amdhsa_kernarg_size 64
		.amdhsa_user_sgpr_count 2
		.amdhsa_user_sgpr_dispatch_ptr 0
		.amdhsa_user_sgpr_queue_ptr 0
		.amdhsa_user_sgpr_kernarg_segment_ptr 1
		.amdhsa_user_sgpr_dispatch_id 0
		.amdhsa_user_sgpr_kernarg_preload_length 0
		.amdhsa_user_sgpr_kernarg_preload_offset 0
		.amdhsa_user_sgpr_private_segment_size 0
		.amdhsa_wavefront_size32 1
		.amdhsa_uses_dynamic_stack 0
		.amdhsa_enable_private_segment 0
		.amdhsa_system_sgpr_workgroup_id_x 1
		.amdhsa_system_sgpr_workgroup_id_y 0
		.amdhsa_system_sgpr_workgroup_id_z 0
		.amdhsa_system_sgpr_workgroup_info 0
		.amdhsa_system_vgpr_workitem_id 0
		.amdhsa_next_free_vgpr 26
		.amdhsa_next_free_sgpr 26
		.amdhsa_named_barrier_count 0
		.amdhsa_reserve_vcc 1
		.amdhsa_float_round_mode_32 0
		.amdhsa_float_round_mode_16_64 0
		.amdhsa_float_denorm_mode_32 3
		.amdhsa_float_denorm_mode_16_64 3
		.amdhsa_fp16_overflow 0
		.amdhsa_memory_ordered 1
		.amdhsa_forward_progress 1
		.amdhsa_inst_pref_size 24
		.amdhsa_round_robin_scheduling 0
		.amdhsa_exception_fp_ieee_invalid_op 0
		.amdhsa_exception_fp_denorm_src 0
		.amdhsa_exception_fp_ieee_div_zero 0
		.amdhsa_exception_fp_ieee_overflow 0
		.amdhsa_exception_fp_ieee_underflow 0
		.amdhsa_exception_fp_ieee_inexact 0
		.amdhsa_exception_int_div_zero 0
	.end_amdhsa_kernel
	.section	.text._ZN9rocsparseL19coomvn_atomic_loopsILj256ELj2Ei21rocsparse_complex_numIfES2_S2_S2_EEvlNS_24const_host_device_scalarIT5_EEPKT1_S8_PKT2_PKT3_PT4_21rocsparse_index_base_b,"axG",@progbits,_ZN9rocsparseL19coomvn_atomic_loopsILj256ELj2Ei21rocsparse_complex_numIfES2_S2_S2_EEvlNS_24const_host_device_scalarIT5_EEPKT1_S8_PKT2_PKT3_PT4_21rocsparse_index_base_b,comdat
.Lfunc_end26:
	.size	_ZN9rocsparseL19coomvn_atomic_loopsILj256ELj2Ei21rocsparse_complex_numIfES2_S2_S2_EEvlNS_24const_host_device_scalarIT5_EEPKT1_S8_PKT2_PKT3_PT4_21rocsparse_index_base_b, .Lfunc_end26-_ZN9rocsparseL19coomvn_atomic_loopsILj256ELj2Ei21rocsparse_complex_numIfES2_S2_S2_EEvlNS_24const_host_device_scalarIT5_EEPKT1_S8_PKT2_PKT3_PT4_21rocsparse_index_base_b
                                        ; -- End function
	.set _ZN9rocsparseL19coomvn_atomic_loopsILj256ELj2Ei21rocsparse_complex_numIfES2_S2_S2_EEvlNS_24const_host_device_scalarIT5_EEPKT1_S8_PKT2_PKT3_PT4_21rocsparse_index_base_b.num_vgpr, 26
	.set _ZN9rocsparseL19coomvn_atomic_loopsILj256ELj2Ei21rocsparse_complex_numIfES2_S2_S2_EEvlNS_24const_host_device_scalarIT5_EEPKT1_S8_PKT2_PKT3_PT4_21rocsparse_index_base_b.num_agpr, 0
	.set _ZN9rocsparseL19coomvn_atomic_loopsILj256ELj2Ei21rocsparse_complex_numIfES2_S2_S2_EEvlNS_24const_host_device_scalarIT5_EEPKT1_S8_PKT2_PKT3_PT4_21rocsparse_index_base_b.numbered_sgpr, 26
	.set _ZN9rocsparseL19coomvn_atomic_loopsILj256ELj2Ei21rocsparse_complex_numIfES2_S2_S2_EEvlNS_24const_host_device_scalarIT5_EEPKT1_S8_PKT2_PKT3_PT4_21rocsparse_index_base_b.num_named_barrier, 0
	.set _ZN9rocsparseL19coomvn_atomic_loopsILj256ELj2Ei21rocsparse_complex_numIfES2_S2_S2_EEvlNS_24const_host_device_scalarIT5_EEPKT1_S8_PKT2_PKT3_PT4_21rocsparse_index_base_b.private_seg_size, 0
	.set _ZN9rocsparseL19coomvn_atomic_loopsILj256ELj2Ei21rocsparse_complex_numIfES2_S2_S2_EEvlNS_24const_host_device_scalarIT5_EEPKT1_S8_PKT2_PKT3_PT4_21rocsparse_index_base_b.uses_vcc, 1
	.set _ZN9rocsparseL19coomvn_atomic_loopsILj256ELj2Ei21rocsparse_complex_numIfES2_S2_S2_EEvlNS_24const_host_device_scalarIT5_EEPKT1_S8_PKT2_PKT3_PT4_21rocsparse_index_base_b.uses_flat_scratch, 0
	.set _ZN9rocsparseL19coomvn_atomic_loopsILj256ELj2Ei21rocsparse_complex_numIfES2_S2_S2_EEvlNS_24const_host_device_scalarIT5_EEPKT1_S8_PKT2_PKT3_PT4_21rocsparse_index_base_b.has_dyn_sized_stack, 0
	.set _ZN9rocsparseL19coomvn_atomic_loopsILj256ELj2Ei21rocsparse_complex_numIfES2_S2_S2_EEvlNS_24const_host_device_scalarIT5_EEPKT1_S8_PKT2_PKT3_PT4_21rocsparse_index_base_b.has_recursion, 0
	.set _ZN9rocsparseL19coomvn_atomic_loopsILj256ELj2Ei21rocsparse_complex_numIfES2_S2_S2_EEvlNS_24const_host_device_scalarIT5_EEPKT1_S8_PKT2_PKT3_PT4_21rocsparse_index_base_b.has_indirect_call, 0
	.section	.AMDGPU.csdata,"",@progbits
; Kernel info:
; codeLenInByte = 3040
; TotalNumSgprs: 28
; NumVgprs: 26
; ScratchSize: 0
; MemoryBound: 0
; FloatMode: 240
; IeeeMode: 1
; LDSByteSize: 3072 bytes/workgroup (compile time only)
; SGPRBlocks: 0
; VGPRBlocks: 1
; NumSGPRsForWavesPerEU: 28
; NumVGPRsForWavesPerEU: 26
; NamedBarCnt: 0
; Occupancy: 16
; WaveLimiterHint : 1
; COMPUTE_PGM_RSRC2:SCRATCH_EN: 0
; COMPUTE_PGM_RSRC2:USER_SGPR: 2
; COMPUTE_PGM_RSRC2:TRAP_HANDLER: 0
; COMPUTE_PGM_RSRC2:TGID_X_EN: 1
; COMPUTE_PGM_RSRC2:TGID_Y_EN: 0
; COMPUTE_PGM_RSRC2:TGID_Z_EN: 0
; COMPUTE_PGM_RSRC2:TIDIG_COMP_CNT: 0
	.section	.text._ZN9rocsparseL22coomvn_segmented_loopsILj256El21rocsparse_complex_numIfES2_S2_S2_EEvlT0_NS_24const_host_device_scalarIT4_EEPKS3_S8_PKT1_PKT2_PT3_PS3_PS5_21rocsparse_index_base_b,"axG",@progbits,_ZN9rocsparseL22coomvn_segmented_loopsILj256El21rocsparse_complex_numIfES2_S2_S2_EEvlT0_NS_24const_host_device_scalarIT4_EEPKS3_S8_PKT1_PKT2_PT3_PS3_PS5_21rocsparse_index_base_b,comdat
	.globl	_ZN9rocsparseL22coomvn_segmented_loopsILj256El21rocsparse_complex_numIfES2_S2_S2_EEvlT0_NS_24const_host_device_scalarIT4_EEPKS3_S8_PKT1_PKT2_PT3_PS3_PS5_21rocsparse_index_base_b ; -- Begin function _ZN9rocsparseL22coomvn_segmented_loopsILj256El21rocsparse_complex_numIfES2_S2_S2_EEvlT0_NS_24const_host_device_scalarIT4_EEPKS3_S8_PKT1_PKT2_PT3_PS3_PS5_21rocsparse_index_base_b
	.p2align	8
	.type	_ZN9rocsparseL22coomvn_segmented_loopsILj256El21rocsparse_complex_numIfES2_S2_S2_EEvlT0_NS_24const_host_device_scalarIT4_EEPKS3_S8_PKT1_PKT2_PT3_PS3_PS5_21rocsparse_index_base_b,@function
_ZN9rocsparseL22coomvn_segmented_loopsILj256El21rocsparse_complex_numIfES2_S2_S2_EEvlT0_NS_24const_host_device_scalarIT4_EEPKS3_S8_PKT1_PKT2_PT3_PS3_PS5_21rocsparse_index_base_b: ; @_ZN9rocsparseL22coomvn_segmented_loopsILj256El21rocsparse_complex_numIfES2_S2_S2_EEvlT0_NS_24const_host_device_scalarIT4_EEPKS3_S8_PKT1_PKT2_PT3_PS3_PS5_21rocsparse_index_base_b
; %bb.0:
	s_clause 0x1
	s_load_b64 s[28:29], s[0:1], 0x50
	s_load_b64 s[2:3], s[0:1], 0x10
	v_mov_b32_e32 v1, 0
	s_add_nc_u64 s[4:5], s[0:1], 16
	s_mov_b32 s15, 0
	s_wait_kmcnt 0x0
	s_bitcmp1_b32 s29, 0
	s_cselect_b32 s3, s5, s3
	s_cselect_b32 s2, s4, s2
	flat_load_b64 v[2:3], v1, s[2:3]
	s_wait_loadcnt_dscnt 0x0
	v_cmp_neq_f32_e32 vcc_lo, 0, v2
	v_cmp_neq_f32_e64 s2, 0, v3
	s_or_b32 s2, vcc_lo, s2
	s_delay_alu instid0(SALU_CYCLE_1)
	s_and_saveexec_b32 s3, s2
	s_cbranch_execz .LBB27_87
; %bb.1:
	s_load_b128 s[24:27], s[0:1], 0x0
	s_bfe_u32 s2, ttmp6, 0x4000c
	s_load_b256 s[16:23], s[0:1], 0x18
	s_add_co_i32 s2, s2, 1
	s_and_b32 s3, ttmp6, 15
	s_mul_i32 s2, ttmp9, s2
	s_getreg_b32 s4, hwreg(HW_REG_IB_STS2, 6, 4)
	s_add_co_i32 s3, s3, s2
	s_cmp_eq_u32 s4, 0
	v_mov_b64_e32 v[4:5], -1
	s_cselect_b32 s14, ttmp9, s3
	v_mov_b64_e32 v[6:7], 0
	s_wait_kmcnt 0x0
	s_mul_u64 s[34:35], s[14:15], s[26:27]
	s_delay_alu instid0(SALU_CYCLE_1) | instskip(NEXT) | instid1(SALU_CYCLE_1)
	s_lshl_b64 s[2:3], s[34:35], 8
	v_dual_mov_b32 v11, s3 :: v_dual_bitop2_b32 v10, s2, v0 bitop3:0x54
	s_mov_b32 s2, exec_lo
	s_delay_alu instid0(VALU_DEP_1)
	v_cmpx_gt_i64_e64 s[24:25], v[10:11]
	s_cbranch_execz .LBB27_3
; %bb.2:
	v_lshlrev_b64_e32 v[6:7], 3, v[10:11]
	s_mov_b32 s29, 0
	s_delay_alu instid0(VALU_DEP_1)
	v_add_nc_u64_e32 v[4:5], s[16:17], v[6:7]
	v_add_nc_u64_e32 v[8:9], s[18:19], v[6:7]
	;; [unrolled: 1-line block ×3, first 2 shown]
	global_load_b64 v[12:13], v[4:5], off th:TH_LOAD_NT
	global_load_b64 v[14:15], v[8:9], off th:TH_LOAD_NT
	s_wait_loadcnt 0x1
	s_wait_xcnt 0x1
	v_sub_nc_u64_e64 v[4:5], v[12:13], s[28:29]
	s_wait_loadcnt 0x0
	v_lshl_add_u64 v[8:9], v[14:15], 3, s[22:23]
	s_ashr_i32 s29, s28, 31
	s_delay_alu instid0(SALU_CYCLE_1)
	s_lshl_b64 s[4:5], s[28:29], 3
	s_delay_alu instid0(VALU_DEP_1) | instid1(SALU_CYCLE_1)
	v_sub_nc_u64_e64 v[8:9], v[8:9], s[4:5]
	global_load_b64 v[12:13], v[8:9], off
	global_load_b64 v[14:15], v[6:7], off th:TH_LOAD_NT
	s_wait_loadcnt 0x0
	v_pk_mul_f32 v[6:7], v[12:13], v[14:15] op_sel:[1,1] op_sel_hi:[1,0] neg_lo:[0,1]
	s_delay_alu instid0(VALU_DEP_1)
	v_pk_fma_f32 v[6:7], v[14:15], v[12:13], v[6:7] op_sel_hi:[1,0,1]
.LBB27_3:
	s_or_b32 exec_lo, exec_lo, s2
	v_lshlrev_b32_e32 v1, 3, v0
	v_cmp_eq_u32_e64 s2, 0, v0
	v_cmp_ne_u32_e64 s3, 0, v0
	s_delay_alu instid0(VALU_DEP_3)
	v_or_b32_e32 v20, 0x800, v1
	v_add_nc_u32_e32 v21, -8, v1
	ds_store_2addr_stride64_b64 v1, v[4:5], v[6:7] offset1:4
	s_wait_dscnt 0x0
	s_barrier_signal -1
	s_barrier_wait -1
	s_and_saveexec_b32 s4, s3
	s_cbranch_execz .LBB27_7
; %bb.4:
	ds_load_b64 v[8:9], v21
	s_mov_b32 s5, exec_lo
	s_wait_dscnt 0x0
	v_cmpx_eq_u64_e64 v[4:5], v[8:9]
	s_cbranch_execz .LBB27_6
; %bb.5:
	v_add_nc_u32_e32 v8, -8, v20
	ds_load_b64 v[8:9], v8
	s_wait_dscnt 0x0
	v_pk_add_f32 v[6:7], v[6:7], v[8:9]
.LBB27_6:
	s_or_b32 exec_lo, exec_lo, s5
.LBB27_7:
	s_delay_alu instid0(SALU_CYCLE_1)
	s_or_b32 exec_lo, exec_lo, s4
	v_cmp_lt_u32_e64 s4, 1, v0
	v_add_nc_u32_e32 v22, -16, v1
	s_barrier_signal -1
	s_barrier_wait -1
	ds_store_b64 v20, v[6:7]
	s_wait_dscnt 0x0
	s_barrier_signal -1
	s_barrier_wait -1
	s_and_saveexec_b32 s5, s4
	s_cbranch_execz .LBB27_11
; %bb.8:
	ds_load_b64 v[8:9], v22
	s_mov_b32 s6, exec_lo
	s_wait_dscnt 0x0
	v_cmpx_eq_u64_e64 v[4:5], v[8:9]
	s_cbranch_execz .LBB27_10
; %bb.9:
	v_add_nc_u32_e32 v8, -16, v20
	ds_load_b64 v[8:9], v8
	s_wait_dscnt 0x0
	v_pk_add_f32 v[6:7], v[6:7], v[8:9]
.LBB27_10:
	s_or_b32 exec_lo, exec_lo, s6
.LBB27_11:
	s_delay_alu instid0(SALU_CYCLE_1)
	s_or_b32 exec_lo, exec_lo, s5
	v_cmp_lt_u32_e64 s5, 3, v0
	v_subrev_nc_u32_e32 v23, 32, v1
	s_barrier_signal -1
	s_barrier_wait -1
	ds_store_b64 v20, v[6:7]
	s_wait_dscnt 0x0
	s_barrier_signal -1
	s_barrier_wait -1
	s_and_saveexec_b32 s6, s5
	s_cbranch_execz .LBB27_15
; %bb.12:
	ds_load_b64 v[8:9], v23
	s_mov_b32 s7, exec_lo
	s_wait_dscnt 0x0
	v_cmpx_eq_u64_e64 v[4:5], v[8:9]
	s_cbranch_execz .LBB27_14
; %bb.13:
	v_subrev_nc_u32_e32 v8, 32, v20
	ds_load_b64 v[8:9], v8
	s_wait_dscnt 0x0
	v_pk_add_f32 v[6:7], v[6:7], v[8:9]
.LBB27_14:
	s_or_b32 exec_lo, exec_lo, s7
.LBB27_15:
	s_delay_alu instid0(SALU_CYCLE_1)
	s_or_b32 exec_lo, exec_lo, s6
	v_cmp_lt_u32_e64 s6, 7, v0
	v_subrev_nc_u32_e32 v24, 64, v1
	s_barrier_signal -1
	s_barrier_wait -1
	ds_store_b64 v20, v[6:7]
	s_wait_dscnt 0x0
	s_barrier_signal -1
	s_barrier_wait -1
	s_and_saveexec_b32 s7, s6
	s_cbranch_execz .LBB27_19
; %bb.16:
	ds_load_b64 v[8:9], v24
	s_mov_b32 s8, exec_lo
	s_wait_dscnt 0x0
	v_cmpx_eq_u64_e64 v[4:5], v[8:9]
	s_cbranch_execz .LBB27_18
; %bb.17:
	v_subrev_nc_u32_e32 v8, 64, v20
	ds_load_b64 v[8:9], v8
	s_wait_dscnt 0x0
	v_pk_add_f32 v[6:7], v[6:7], v[8:9]
.LBB27_18:
	s_or_b32 exec_lo, exec_lo, s8
.LBB27_19:
	s_delay_alu instid0(SALU_CYCLE_1)
	s_or_b32 exec_lo, exec_lo, s7
	v_cmp_lt_u32_e64 s7, 15, v0
	v_add_nc_u32_e32 v25, 0xffffff80, v1
	s_barrier_signal -1
	s_barrier_wait -1
	ds_store_b64 v20, v[6:7]
	s_wait_dscnt 0x0
	s_barrier_signal -1
	s_barrier_wait -1
	s_and_saveexec_b32 s8, s7
	s_cbranch_execz .LBB27_23
; %bb.20:
	ds_load_b64 v[8:9], v25
	s_mov_b32 s9, exec_lo
	s_wait_dscnt 0x0
	v_cmpx_eq_u64_e64 v[4:5], v[8:9]
	s_cbranch_execz .LBB27_22
; %bb.21:
	v_add_nc_u32_e32 v8, 0xffffff80, v20
	ds_load_b64 v[8:9], v8
	s_wait_dscnt 0x0
	v_pk_add_f32 v[6:7], v[6:7], v[8:9]
.LBB27_22:
	s_or_b32 exec_lo, exec_lo, s9
.LBB27_23:
	s_delay_alu instid0(SALU_CYCLE_1)
	s_or_b32 exec_lo, exec_lo, s8
	v_cmp_lt_u32_e64 s8, 31, v0
	v_add_nc_u32_e32 v26, 0xffffff00, v1
	s_barrier_signal -1
	s_barrier_wait -1
	ds_store_b64 v20, v[6:7]
	s_wait_dscnt 0x0
	s_barrier_signal -1
	s_barrier_wait -1
	s_and_saveexec_b32 s9, s8
	s_cbranch_execz .LBB27_27
; %bb.24:
	ds_load_b64 v[8:9], v26
	s_mov_b32 s10, exec_lo
	s_wait_dscnt 0x0
	v_cmpx_eq_u64_e64 v[4:5], v[8:9]
	s_cbranch_execz .LBB27_26
; %bb.25:
	v_add_nc_u32_e32 v8, 0xffffff00, v20
	ds_load_b64 v[8:9], v8
	s_wait_dscnt 0x0
	v_pk_add_f32 v[6:7], v[6:7], v[8:9]
.LBB27_26:
	s_or_b32 exec_lo, exec_lo, s10
.LBB27_27:
	;; [unrolled: 26-line block ×4, first 2 shown]
	s_delay_alu instid0(SALU_CYCLE_1)
	s_or_b32 exec_lo, exec_lo, s11
	s_load_b64 s[30:31], s[0:1], 0x38
	v_cmp_gt_u32_e64 s11, 0xff, v0
	s_barrier_signal -1
	s_barrier_wait -1
	ds_store_b64 v20, v[6:7]
	s_wait_dscnt 0x0
	s_barrier_signal -1
	s_barrier_wait -1
	s_and_saveexec_b32 s13, s11
	s_cbranch_execz .LBB27_38
; %bb.36:
	ds_load_b64 v[8:9], v1 offset:8
	v_cmp_lt_i64_e64 s12, -1, v[4:5]
	s_wait_dscnt 0x0
	v_cmp_ne_u64_e32 vcc_lo, v[4:5], v[8:9]
	s_and_b32 s12, s12, vcc_lo
	s_delay_alu instid0(SALU_CYCLE_1)
	s_and_b32 exec_lo, exec_lo, s12
	s_cbranch_execz .LBB27_38
; %bb.37:
	s_wait_kmcnt 0x0
	v_lshl_add_u64 v[8:9], v[4:5], 3, s[30:31]
	v_xor_b32_e32 v14, 0x80000000, v3
	v_mov_b32_e32 v15, v2
	global_load_b64 v[12:13], v[8:9], off
	s_wait_loadcnt 0x0
	v_pk_fma_f32 v[12:13], v[2:3], v[6:7], v[12:13] op_sel_hi:[1,0,1]
	s_delay_alu instid0(VALU_DEP_1)
	v_pk_fma_f32 v[12:13], v[14:15], v[6:7], v[12:13] op_sel:[0,1,0]
	global_store_b64 v[8:9], v[12:13], off
.LBB27_38:
	s_wait_xcnt 0x0
	s_or_b32 exec_lo, exec_lo, s13
	v_cmp_lt_i64_e64 s12, s[26:27], 2
	v_xor_b32_e32 v8, 0x80000000, v3
	s_and_b32 vcc_lo, exec_lo, s12
	s_cbranch_vccnz .LBB27_85
; %bb.39:
	s_lshl_b64 s[34:35], s[34:35], 11
	v_add_nc_u64_e32 v[10:11], 0x100, v[10:11]
	v_lshl_or_b32 v4, v0, 3, s34
	v_dual_mov_b32 v5, s35 :: v_dual_add_nc_u32 v29, -8, v20
	s_ashr_i32 s13, s28, 31
	s_mov_b32 s12, s28
	v_dual_mov_b32 v9, v2 :: v_dual_add_nc_u32 v30, -16, v20
	s_delay_alu instid0(VALU_DEP_2)
	v_add_nc_u64_e32 v[4:5], 0x800, v[4:5]
	v_subrev_nc_u32_e32 v31, 32, v20
	v_subrev_nc_u32_e32 v32, 64, v20
	v_add_nc_u32_e32 v33, 0xffffff80, v20
	v_dual_mov_b32 v37, 0 :: v_dual_add_nc_u32 v34, 0xffffff00, v20
	v_add_nc_u32_e32 v35, 0xfffffe00, v20
	v_add_nc_u64_e32 v[12:13], s[18:19], v[4:5]
	v_add_nc_u64_e32 v[14:15], s[20:21], v[4:5]
	;; [unrolled: 1-line block ×3, first 2 shown]
	v_add_nc_u32_e32 v36, 0xfffffc00, v20
	s_lshl_b64 s[12:13], s[12:13], 3
	s_add_nc_u64 s[26:27], s[26:27], -1
	s_mov_b32 s29, 0
	s_sub_nc_u64 s[16:17], s[22:23], s[12:13]
	s_mov_b64 s[18:19], 0
	s_branch .LBB27_41
.LBB27_40:                              ;   in Loop: Header=BB27_41 Depth=1
	s_wait_xcnt 0x0
	s_or_b32 exec_lo, exec_lo, s13
	s_add_nc_u64 s[18:19], s[18:19], 1
	v_add_nc_u64_e32 v[12:13], 0x800, v[12:13]
	v_cmp_le_u64_e64 s12, s[26:27], s[18:19]
	v_add_nc_u64_e32 v[14:15], 0x800, v[14:15]
	v_add_nc_u64_e32 v[16:17], 0x800, v[16:17]
	;; [unrolled: 1-line block ×3, first 2 shown]
	s_and_b32 vcc_lo, exec_lo, s12
	s_cbranch_vccnz .LBB27_85
.LBB27_41:                              ; =>This Inner Loop Header: Depth=1
	v_mov_b64_e32 v[4:5], -1
	v_mov_b64_e32 v[6:7], 0
	s_mov_b32 s12, exec_lo
	s_delay_alu instid0(VALU_DEP_3)
	v_cmpx_gt_i64_e64 s[24:25], v[10:11]
	s_cbranch_execz .LBB27_43
; %bb.42:                               ;   in Loop: Header=BB27_41 Depth=1
	global_load_b64 v[4:5], v[12:13], off th:TH_LOAD_NT
	s_wait_loadcnt 0x0
	v_lshl_add_u64 v[4:5], v[4:5], 3, s[16:17]
	global_load_b64 v[6:7], v[4:5], off
	global_load_b64 v[18:19], v[14:15], off th:TH_LOAD_NT
	global_load_b64 v[38:39], v[16:17], off th:TH_LOAD_NT
	s_wait_loadcnt 0x1
	v_pk_mul_f32 v[40:41], v[6:7], v[18:19] op_sel:[1,1] op_sel_hi:[1,0] neg_lo:[0,1]
	s_wait_loadcnt 0x0
	s_wait_xcnt 0x2
	v_sub_nc_u64_e64 v[4:5], v[38:39], s[28:29]
	s_delay_alu instid0(VALU_DEP_2)
	v_pk_fma_f32 v[6:7], v[18:19], v[6:7], v[40:41] op_sel_hi:[1,0,1]
.LBB27_43:                              ;   in Loop: Header=BB27_41 Depth=1
	s_wait_xcnt 0x0
	s_or_b32 exec_lo, exec_lo, s12
	s_and_saveexec_b32 s12, s2
	s_cbranch_execz .LBB27_50
; %bb.44:                               ;   in Loop: Header=BB27_41 Depth=1
	ds_load_b64 v[18:19], v37 offset:2040
	s_mov_b32 s13, exec_lo
	s_wait_dscnt 0x0
	v_cmpx_ne_u64_e64 v[4:5], v[18:19]
	s_xor_b32 s13, exec_lo, s13
	s_cbranch_execz .LBB27_47
; %bb.45:                               ;   in Loop: Header=BB27_41 Depth=1
	v_cmp_gt_i64_e32 vcc_lo, 0, v[18:19]
	s_cbranch_vccnz .LBB27_47
; %bb.46:                               ;   in Loop: Header=BB27_41 Depth=1
	v_lshlrev_b64_e32 v[18:19], 3, v[18:19]
	ds_load_b64 v[40:41], v37 offset:4088
	s_wait_kmcnt 0x0
	v_add_nc_u64_e32 v[18:19], s[30:31], v[18:19]
	global_load_b64 v[38:39], v[18:19], off
	s_wait_loadcnt_dscnt 0x0
	v_pk_fma_f32 v[38:39], v[2:3], v[40:41], v[38:39] op_sel_hi:[1,0,1]
	s_delay_alu instid0(VALU_DEP_1)
	v_pk_fma_f32 v[38:39], v[8:9], v[40:41], v[38:39] op_sel:[0,1,0]
	global_store_b64 v[18:19], v[38:39], off
.LBB27_47:                              ;   in Loop: Header=BB27_41 Depth=1
	s_wait_xcnt 0x0
	s_and_not1_saveexec_b32 s13, s13
	s_cbranch_execz .LBB27_49
; %bb.48:                               ;   in Loop: Header=BB27_41 Depth=1
	ds_load_b64 v[18:19], v37 offset:4088
	s_wait_dscnt 0x0
	v_pk_add_f32 v[6:7], v[6:7], v[18:19]
.LBB27_49:                              ;   in Loop: Header=BB27_41 Depth=1
	s_or_b32 exec_lo, exec_lo, s13
.LBB27_50:                              ;   in Loop: Header=BB27_41 Depth=1
	s_delay_alu instid0(SALU_CYCLE_1)
	s_or_b32 exec_lo, exec_lo, s12
	s_wait_storecnt 0x0
	s_barrier_signal -1
	s_barrier_wait -1
	ds_store_b64 v1, v[4:5]
	ds_store_b64 v20, v[6:7]
	s_wait_dscnt 0x0
	s_barrier_signal -1
	s_barrier_wait -1
	s_and_saveexec_b32 s12, s3
	s_cbranch_execz .LBB27_54
; %bb.51:                               ;   in Loop: Header=BB27_41 Depth=1
	ds_load_b64 v[18:19], v21
	s_mov_b32 s13, exec_lo
	s_wait_dscnt 0x0
	v_cmpx_eq_u64_e64 v[4:5], v[18:19]
	s_cbranch_execz .LBB27_53
; %bb.52:                               ;   in Loop: Header=BB27_41 Depth=1
	ds_load_b64 v[18:19], v29
	s_wait_dscnt 0x0
	v_pk_add_f32 v[6:7], v[6:7], v[18:19]
.LBB27_53:                              ;   in Loop: Header=BB27_41 Depth=1
	s_or_b32 exec_lo, exec_lo, s13
.LBB27_54:                              ;   in Loop: Header=BB27_41 Depth=1
	s_delay_alu instid0(SALU_CYCLE_1)
	s_or_b32 exec_lo, exec_lo, s12
	s_barrier_signal -1
	s_barrier_wait -1
	ds_store_b64 v20, v[6:7]
	s_wait_dscnt 0x0
	s_barrier_signal -1
	s_barrier_wait -1
	s_and_saveexec_b32 s12, s4
	s_cbranch_execz .LBB27_58
; %bb.55:                               ;   in Loop: Header=BB27_41 Depth=1
	ds_load_b64 v[18:19], v22
	s_mov_b32 s13, exec_lo
	s_wait_dscnt 0x0
	v_cmpx_eq_u64_e64 v[4:5], v[18:19]
	s_cbranch_execz .LBB27_57
; %bb.56:                               ;   in Loop: Header=BB27_41 Depth=1
	ds_load_b64 v[18:19], v30
	s_wait_dscnt 0x0
	v_pk_add_f32 v[6:7], v[6:7], v[18:19]
.LBB27_57:                              ;   in Loop: Header=BB27_41 Depth=1
	s_or_b32 exec_lo, exec_lo, s13
.LBB27_58:                              ;   in Loop: Header=BB27_41 Depth=1
	s_delay_alu instid0(SALU_CYCLE_1)
	s_or_b32 exec_lo, exec_lo, s12
	s_barrier_signal -1
	s_barrier_wait -1
	;; [unrolled: 23-line block ×8, first 2 shown]
	ds_store_b64 v20, v[6:7]
	s_wait_dscnt 0x0
	s_barrier_signal -1
	s_barrier_wait -1
	s_and_saveexec_b32 s13, s11
	s_cbranch_execz .LBB27_40
; %bb.83:                               ;   in Loop: Header=BB27_41 Depth=1
	ds_load_b64 v[18:19], v1 offset:8
	v_cmp_lt_i64_e64 s12, -1, v[4:5]
	s_wait_dscnt 0x0
	v_cmp_ne_u64_e32 vcc_lo, v[4:5], v[18:19]
	s_and_b32 s12, s12, vcc_lo
	s_delay_alu instid0(SALU_CYCLE_1)
	s_and_b32 exec_lo, exec_lo, s12
	s_cbranch_execz .LBB27_40
; %bb.84:                               ;   in Loop: Header=BB27_41 Depth=1
	s_wait_kmcnt 0x0
	v_lshl_add_u64 v[18:19], v[4:5], 3, s[30:31]
	global_load_b64 v[38:39], v[18:19], off
	s_wait_loadcnt 0x0
	v_pk_fma_f32 v[38:39], v[2:3], v[6:7], v[38:39] op_sel_hi:[1,0,1]
	s_delay_alu instid0(VALU_DEP_1)
	v_pk_fma_f32 v[38:39], v[8:9], v[6:7], v[38:39] op_sel:[0,1,0]
	global_store_b64 v[18:19], v[38:39], off
	s_branch .LBB27_40
.LBB27_85:
	s_load_b128 s[4:7], s[0:1], 0x40
	v_cmp_eq_u32_e32 vcc_lo, 0xff, v0
	s_and_b32 exec_lo, exec_lo, vcc_lo
	s_cbranch_execz .LBB27_87
; %bb.86:
	v_mov_b32_e32 v9, v2
	s_wait_xcnt 0x0
	s_lshl_b64 s[0:1], s[14:15], 3
	s_wait_kmcnt 0x0
	s_add_nc_u64 s[2:3], s[4:5], s[0:1]
	s_add_nc_u64 s[0:1], s[6:7], s[0:1]
	v_pk_mul_f32 v[0:1], v[6:7], v[8:9] op_sel:[1,0]
	v_mov_b32_e32 v8, 0
	s_delay_alu instid0(VALU_DEP_2)
	v_pk_fma_f32 v[0:1], v[2:3], v[6:7], v[0:1] op_sel_hi:[1,0,1]
	s_clause 0x1
	global_store_b64 v8, v[4:5], s[2:3] th:TH_STORE_NT
	global_store_b64 v8, v[0:1], s[0:1] th:TH_STORE_NT
.LBB27_87:
	s_endpgm
	.section	.rodata,"a",@progbits
	.p2align	6, 0x0
	.amdhsa_kernel _ZN9rocsparseL22coomvn_segmented_loopsILj256El21rocsparse_complex_numIfES2_S2_S2_EEvlT0_NS_24const_host_device_scalarIT4_EEPKS3_S8_PKT1_PKT2_PT3_PS3_PS5_21rocsparse_index_base_b
		.amdhsa_group_segment_fixed_size 4096
		.amdhsa_private_segment_fixed_size 0
		.amdhsa_kernarg_size 88
		.amdhsa_user_sgpr_count 2
		.amdhsa_user_sgpr_dispatch_ptr 0
		.amdhsa_user_sgpr_queue_ptr 0
		.amdhsa_user_sgpr_kernarg_segment_ptr 1
		.amdhsa_user_sgpr_dispatch_id 0
		.amdhsa_user_sgpr_kernarg_preload_length 0
		.amdhsa_user_sgpr_kernarg_preload_offset 0
		.amdhsa_user_sgpr_private_segment_size 0
		.amdhsa_wavefront_size32 1
		.amdhsa_uses_dynamic_stack 0
		.amdhsa_enable_private_segment 0
		.amdhsa_system_sgpr_workgroup_id_x 1
		.amdhsa_system_sgpr_workgroup_id_y 0
		.amdhsa_system_sgpr_workgroup_id_z 0
		.amdhsa_system_sgpr_workgroup_info 0
		.amdhsa_system_vgpr_workitem_id 0
		.amdhsa_next_free_vgpr 42
		.amdhsa_next_free_sgpr 36
		.amdhsa_named_barrier_count 0
		.amdhsa_reserve_vcc 1
		.amdhsa_float_round_mode_32 0
		.amdhsa_float_round_mode_16_64 0
		.amdhsa_float_denorm_mode_32 3
		.amdhsa_float_denorm_mode_16_64 3
		.amdhsa_fp16_overflow 0
		.amdhsa_memory_ordered 1
		.amdhsa_forward_progress 1
		.amdhsa_inst_pref_size 24
		.amdhsa_round_robin_scheduling 0
		.amdhsa_exception_fp_ieee_invalid_op 0
		.amdhsa_exception_fp_denorm_src 0
		.amdhsa_exception_fp_ieee_div_zero 0
		.amdhsa_exception_fp_ieee_overflow 0
		.amdhsa_exception_fp_ieee_underflow 0
		.amdhsa_exception_fp_ieee_inexact 0
		.amdhsa_exception_int_div_zero 0
	.end_amdhsa_kernel
	.section	.text._ZN9rocsparseL22coomvn_segmented_loopsILj256El21rocsparse_complex_numIfES2_S2_S2_EEvlT0_NS_24const_host_device_scalarIT4_EEPKS3_S8_PKT1_PKT2_PT3_PS3_PS5_21rocsparse_index_base_b,"axG",@progbits,_ZN9rocsparseL22coomvn_segmented_loopsILj256El21rocsparse_complex_numIfES2_S2_S2_EEvlT0_NS_24const_host_device_scalarIT4_EEPKS3_S8_PKT1_PKT2_PT3_PS3_PS5_21rocsparse_index_base_b,comdat
.Lfunc_end27:
	.size	_ZN9rocsparseL22coomvn_segmented_loopsILj256El21rocsparse_complex_numIfES2_S2_S2_EEvlT0_NS_24const_host_device_scalarIT4_EEPKS3_S8_PKT1_PKT2_PT3_PS3_PS5_21rocsparse_index_base_b, .Lfunc_end27-_ZN9rocsparseL22coomvn_segmented_loopsILj256El21rocsparse_complex_numIfES2_S2_S2_EEvlT0_NS_24const_host_device_scalarIT4_EEPKS3_S8_PKT1_PKT2_PT3_PS3_PS5_21rocsparse_index_base_b
                                        ; -- End function
	.set _ZN9rocsparseL22coomvn_segmented_loopsILj256El21rocsparse_complex_numIfES2_S2_S2_EEvlT0_NS_24const_host_device_scalarIT4_EEPKS3_S8_PKT1_PKT2_PT3_PS3_PS5_21rocsparse_index_base_b.num_vgpr, 42
	.set _ZN9rocsparseL22coomvn_segmented_loopsILj256El21rocsparse_complex_numIfES2_S2_S2_EEvlT0_NS_24const_host_device_scalarIT4_EEPKS3_S8_PKT1_PKT2_PT3_PS3_PS5_21rocsparse_index_base_b.num_agpr, 0
	.set _ZN9rocsparseL22coomvn_segmented_loopsILj256El21rocsparse_complex_numIfES2_S2_S2_EEvlT0_NS_24const_host_device_scalarIT4_EEPKS3_S8_PKT1_PKT2_PT3_PS3_PS5_21rocsparse_index_base_b.numbered_sgpr, 36
	.set _ZN9rocsparseL22coomvn_segmented_loopsILj256El21rocsparse_complex_numIfES2_S2_S2_EEvlT0_NS_24const_host_device_scalarIT4_EEPKS3_S8_PKT1_PKT2_PT3_PS3_PS5_21rocsparse_index_base_b.num_named_barrier, 0
	.set _ZN9rocsparseL22coomvn_segmented_loopsILj256El21rocsparse_complex_numIfES2_S2_S2_EEvlT0_NS_24const_host_device_scalarIT4_EEPKS3_S8_PKT1_PKT2_PT3_PS3_PS5_21rocsparse_index_base_b.private_seg_size, 0
	.set _ZN9rocsparseL22coomvn_segmented_loopsILj256El21rocsparse_complex_numIfES2_S2_S2_EEvlT0_NS_24const_host_device_scalarIT4_EEPKS3_S8_PKT1_PKT2_PT3_PS3_PS5_21rocsparse_index_base_b.uses_vcc, 1
	.set _ZN9rocsparseL22coomvn_segmented_loopsILj256El21rocsparse_complex_numIfES2_S2_S2_EEvlT0_NS_24const_host_device_scalarIT4_EEPKS3_S8_PKT1_PKT2_PT3_PS3_PS5_21rocsparse_index_base_b.uses_flat_scratch, 0
	.set _ZN9rocsparseL22coomvn_segmented_loopsILj256El21rocsparse_complex_numIfES2_S2_S2_EEvlT0_NS_24const_host_device_scalarIT4_EEPKS3_S8_PKT1_PKT2_PT3_PS3_PS5_21rocsparse_index_base_b.has_dyn_sized_stack, 0
	.set _ZN9rocsparseL22coomvn_segmented_loopsILj256El21rocsparse_complex_numIfES2_S2_S2_EEvlT0_NS_24const_host_device_scalarIT4_EEPKS3_S8_PKT1_PKT2_PT3_PS3_PS5_21rocsparse_index_base_b.has_recursion, 0
	.set _ZN9rocsparseL22coomvn_segmented_loopsILj256El21rocsparse_complex_numIfES2_S2_S2_EEvlT0_NS_24const_host_device_scalarIT4_EEPKS3_S8_PKT1_PKT2_PT3_PS3_PS5_21rocsparse_index_base_b.has_indirect_call, 0
	.section	.AMDGPU.csdata,"",@progbits
; Kernel info:
; codeLenInByte = 3020
; TotalNumSgprs: 38
; NumVgprs: 42
; ScratchSize: 0
; MemoryBound: 0
; FloatMode: 240
; IeeeMode: 1
; LDSByteSize: 4096 bytes/workgroup (compile time only)
; SGPRBlocks: 0
; VGPRBlocks: 2
; NumSGPRsForWavesPerEU: 38
; NumVGPRsForWavesPerEU: 42
; NamedBarCnt: 0
; Occupancy: 16
; WaveLimiterHint : 1
; COMPUTE_PGM_RSRC2:SCRATCH_EN: 0
; COMPUTE_PGM_RSRC2:USER_SGPR: 2
; COMPUTE_PGM_RSRC2:TRAP_HANDLER: 0
; COMPUTE_PGM_RSRC2:TGID_X_EN: 1
; COMPUTE_PGM_RSRC2:TGID_Y_EN: 0
; COMPUTE_PGM_RSRC2:TGID_Z_EN: 0
; COMPUTE_PGM_RSRC2:TIDIG_COMP_CNT: 0
	.section	.text._ZN9rocsparseL29coomvn_segmented_loops_reduceILj256El21rocsparse_complex_numIfES2_EEvT0_NS_24const_host_device_scalarIT2_EEPKS3_PKS5_PT1_b,"axG",@progbits,_ZN9rocsparseL29coomvn_segmented_loops_reduceILj256El21rocsparse_complex_numIfES2_EEvT0_NS_24const_host_device_scalarIT2_EEPKS3_PKS5_PT1_b,comdat
	.globl	_ZN9rocsparseL29coomvn_segmented_loops_reduceILj256El21rocsparse_complex_numIfES2_EEvT0_NS_24const_host_device_scalarIT2_EEPKS3_PKS5_PT1_b ; -- Begin function _ZN9rocsparseL29coomvn_segmented_loops_reduceILj256El21rocsparse_complex_numIfES2_EEvT0_NS_24const_host_device_scalarIT2_EEPKS3_PKS5_PT1_b
	.p2align	8
	.type	_ZN9rocsparseL29coomvn_segmented_loops_reduceILj256El21rocsparse_complex_numIfES2_EEvT0_NS_24const_host_device_scalarIT2_EEPKS3_PKS5_PT1_b,@function
_ZN9rocsparseL29coomvn_segmented_loops_reduceILj256El21rocsparse_complex_numIfES2_EEvT0_NS_24const_host_device_scalarIT2_EEPKS3_PKS5_PT1_b: ; @_ZN9rocsparseL29coomvn_segmented_loops_reduceILj256El21rocsparse_complex_numIfES2_EEvT0_NS_24const_host_device_scalarIT2_EEPKS3_PKS5_PT1_b
; %bb.0:
	s_clause 0x1
	s_load_b32 s8, s[0:1], 0x28
	s_load_b128 s[4:7], s[0:1], 0x0
	v_mov_b32_e32 v1, 0
	s_or_b64 s[2:3], s[0:1], 8
	s_wait_kmcnt 0x0
	s_bitcmp1_b32 s8, 0
	s_cselect_b32 s3, s3, s7
	s_cselect_b32 s2, s2, s6
	flat_load_b64 v[2:3], v1, s[2:3]
	s_wait_loadcnt_dscnt 0x0
	v_cmp_neq_f32_e32 vcc_lo, 0, v2
	v_cmp_neq_f32_e64 s2, 0, v3
	s_or_b32 s2, vcc_lo, s2
	s_delay_alu instid0(SALU_CYCLE_1)
	s_and_saveexec_b32 s3, s2
	s_cbranch_execz .LBB28_42
; %bb.1:
	v_cmp_lt_i64_e64 s2, s[4:5], 1
	s_and_b32 vcc_lo, exec_lo, s2
	s_cbranch_vccnz .LBB28_42
; %bb.2:
	s_clause 0x1
	s_load_b128 s[8:11], s[0:1], 0x10
	s_load_b64 s[2:3], s[0:1], 0x20
	s_wait_xcnt 0x0
	v_sub_co_u32 v3, s0, v0, 1
	s_xor_b32 s12, s0, -1
	v_sub_co_u32 v4, s0, v0, 2
	v_lshl_add_u32 v14, v3, 3, 0x800
	s_xor_b32 s13, s0, -1
	v_sub_co_u32 v3, s0, v0, 4
	s_delay_alu instid0(VALU_DEP_3) | instskip(SKIP_2) | instid1(VALU_DEP_3)
	v_lshl_add_u32 v16, v4, 3, 0x800
	s_xor_b32 s14, s0, -1
	v_sub_co_u32 v4, s0, v0, 8
	v_lshl_add_u32 v18, v3, 3, 0x800
	s_xor_b32 s15, s0, -1
	v_sub_co_u32 v3, s0, v0, 16
	v_dual_mov_b32 v1, 0 :: v_dual_lshlrev_b32 v2, 3, v0
	v_lshl_add_u32 v20, v4, 3, 0x800
	s_xor_b32 s16, s0, -1
	v_sub_co_u32 v4, s0, v0, 32
	v_lshl_add_u32 v22, v3, 3, 0x800
	v_mov_b32_e32 v3, v1
	v_subrev_co_u32 v8, s6, 0x80, v0
	s_delay_alu instid0(VALU_DEP_4)
	v_lshl_add_u32 v24, v4, 3, 0x800
	v_sub_co_u32 v4, s1, v0, 64
	s_wait_kmcnt 0x0
	v_add_nc_u64_e32 v[6:7], s[8:9], v[2:3]
	v_or_b32_e32 v12, 0x800, v2
	v_dual_add_nc_u32 v13, -8, v2 :: v_dual_add_nc_u32 v15, -16, v2
	v_lshl_add_u32 v26, v4, 3, 0x800
	v_add_nc_u64_e32 v[4:5], s[10:11], v[2:3]
	v_subrev_nc_u32_e32 v17, 32, v2
	v_subrev_nc_u32_e32 v19, 64, v2
	v_add_nc_u32_e32 v21, 0xffffff80, v2
	s_xor_b32 s17, s0, -1
	v_add_nc_u32_e32 v23, 0xffffff00, v2
	v_add_nc_u32_e32 v25, 0xfffffe00, v2
	;; [unrolled: 1-line block ×3, first 2 shown]
	v_lshl_add_u32 v3, v8, 3, 0x800
	v_cmp_gt_u32_e64 s0, 0xff, v0
	s_xor_b32 s8, s1, -1
	s_xor_b32 s9, s6, -1
	s_mov_b64 s[6:7], 0
	s_branch .LBB28_4
.LBB28_3:                               ;   in Loop: Header=BB28_4 Depth=1
	s_wait_xcnt 0x0
	s_or_b32 exec_lo, exec_lo, s1
	s_add_nc_u64 s[6:7], s[6:7], 0x100
	v_add_nc_u64_e32 v[4:5], 0x800, v[4:5]
	v_cmp_lt_i64_e64 s1, s[6:7], s[4:5]
	v_add_nc_u64_e32 v[6:7], 0x800, v[6:7]
	s_wait_storecnt 0x0
	s_barrier_signal -1
	s_barrier_wait -1
	s_and_b32 vcc_lo, exec_lo, s1
	s_cbranch_vccz .LBB28_42
.LBB28_4:                               ; =>This Inner Loop Header: Depth=1
	v_add_nc_u64_e32 v[8:9], s[6:7], v[0:1]
	v_dual_mov_b32 v10, 0 :: v_dual_mov_b32 v11, 0
	s_delay_alu instid0(VALU_DEP_2)
	v_cmp_gt_i64_e32 vcc_lo, s[4:5], v[8:9]
	v_mov_b64_e32 v[8:9], -1
	s_and_saveexec_b32 s1, vcc_lo
	s_cbranch_execz .LBB28_6
; %bb.5:                                ;   in Loop: Header=BB28_4 Depth=1
	global_load_b64 v[8:9], v[6:7], off
	global_load_b64 v[10:11], v[4:5], off
.LBB28_6:                               ;   in Loop: Header=BB28_4 Depth=1
	s_wait_xcnt 0x0
	s_or_b32 exec_lo, exec_lo, s1
	s_wait_loadcnt 0x1
	ds_store_b64 v2, v[8:9]
	s_wait_loadcnt 0x0
	ds_store_b64 v12, v[10:11]
	v_dual_mov_b32 v8, 0 :: v_dual_mov_b32 v10, 0
	v_mov_b32_e32 v11, 0
	s_wait_dscnt 0x0
	s_barrier_signal -1
	s_barrier_wait -1
	s_and_saveexec_b32 s1, s12
	s_cbranch_execz .LBB28_10
; %bb.7:                                ;   in Loop: Header=BB28_4 Depth=1
	ds_load_2addr_b64 v[28:31], v13 offset1:1
	v_dual_mov_b32 v11, 0 :: v_dual_mov_b32 v10, 0
	s_mov_b32 s10, exec_lo
	s_wait_dscnt 0x0
	v_cmpx_eq_u64_e64 v[30:31], v[28:29]
; %bb.8:                                ;   in Loop: Header=BB28_4 Depth=1
	ds_load_b64 v[10:11], v14
; %bb.9:                                ;   in Loop: Header=BB28_4 Depth=1
	s_or_b32 exec_lo, exec_lo, s10
.LBB28_10:                              ;   in Loop: Header=BB28_4 Depth=1
	s_delay_alu instid0(SALU_CYCLE_1)
	s_or_b32 exec_lo, exec_lo, s1
	s_wait_dscnt 0x0
	s_barrier_signal -1
	s_barrier_wait -1
	ds_load_b64 v[28:29], v12
	v_mov_b32_e32 v9, 0
	s_wait_dscnt 0x0
	v_pk_add_f32 v[10:11], v[10:11], v[28:29]
	ds_store_b64 v12, v[10:11]
	s_wait_dscnt 0x0
	s_barrier_signal -1
	s_barrier_wait -1
	s_and_saveexec_b32 s1, s13
	s_cbranch_execz .LBB28_14
; %bb.11:                               ;   in Loop: Header=BB28_4 Depth=1
	ds_load_b64 v[8:9], v2
	ds_load_b64 v[10:11], v15
	s_wait_dscnt 0x0
	v_cmp_eq_u64_e32 vcc_lo, v[8:9], v[10:11]
	v_dual_mov_b32 v9, 0 :: v_dual_mov_b32 v8, 0
	s_and_saveexec_b32 s10, vcc_lo
; %bb.12:                               ;   in Loop: Header=BB28_4 Depth=1
	ds_load_b64 v[8:9], v16
; %bb.13:                               ;   in Loop: Header=BB28_4 Depth=1
	s_or_b32 exec_lo, exec_lo, s10
.LBB28_14:                              ;   in Loop: Header=BB28_4 Depth=1
	s_delay_alu instid0(SALU_CYCLE_1)
	s_or_b32 exec_lo, exec_lo, s1
	s_wait_dscnt 0x0
	s_barrier_signal -1
	s_barrier_wait -1
	ds_load_b64 v[10:11], v12
	s_wait_dscnt 0x0
	v_pk_add_f32 v[28:29], v[8:9], v[10:11]
	v_dual_mov_b32 v8, 0 :: v_dual_mov_b32 v10, 0
	v_mov_b32_e32 v11, 0
	ds_store_b64 v12, v[28:29]
	s_wait_dscnt 0x0
	s_barrier_signal -1
	s_barrier_wait -1
	s_and_saveexec_b32 s1, s14
	s_cbranch_execz .LBB28_18
; %bb.15:                               ;   in Loop: Header=BB28_4 Depth=1
	ds_load_b64 v[10:11], v2
	ds_load_b64 v[28:29], v17
	s_wait_dscnt 0x0
	v_cmp_eq_u64_e32 vcc_lo, v[10:11], v[28:29]
	v_dual_mov_b32 v11, 0 :: v_dual_mov_b32 v10, 0
	s_and_saveexec_b32 s10, vcc_lo
; %bb.16:                               ;   in Loop: Header=BB28_4 Depth=1
	ds_load_b64 v[10:11], v18
; %bb.17:                               ;   in Loop: Header=BB28_4 Depth=1
	s_or_b32 exec_lo, exec_lo, s10
.LBB28_18:                              ;   in Loop: Header=BB28_4 Depth=1
	s_delay_alu instid0(SALU_CYCLE_1)
	s_or_b32 exec_lo, exec_lo, s1
	s_wait_dscnt 0x0
	s_barrier_signal -1
	s_barrier_wait -1
	ds_load_b64 v[28:29], v12
	v_mov_b32_e32 v9, 0
	s_wait_dscnt 0x0
	v_pk_add_f32 v[10:11], v[10:11], v[28:29]
	ds_store_b64 v12, v[10:11]
	s_wait_dscnt 0x0
	s_barrier_signal -1
	s_barrier_wait -1
	s_and_saveexec_b32 s1, s15
	s_cbranch_execz .LBB28_22
; %bb.19:                               ;   in Loop: Header=BB28_4 Depth=1
	ds_load_b64 v[8:9], v2
	ds_load_b64 v[10:11], v19
	s_wait_dscnt 0x0
	v_cmp_eq_u64_e32 vcc_lo, v[8:9], v[10:11]
	v_dual_mov_b32 v9, 0 :: v_dual_mov_b32 v8, 0
	s_and_saveexec_b32 s10, vcc_lo
; %bb.20:                               ;   in Loop: Header=BB28_4 Depth=1
	ds_load_b64 v[8:9], v20
; %bb.21:                               ;   in Loop: Header=BB28_4 Depth=1
	s_or_b32 exec_lo, exec_lo, s10
.LBB28_22:                              ;   in Loop: Header=BB28_4 Depth=1
	s_delay_alu instid0(SALU_CYCLE_1)
	s_or_b32 exec_lo, exec_lo, s1
	s_wait_dscnt 0x0
	s_barrier_signal -1
	s_barrier_wait -1
	ds_load_b64 v[10:11], v12
	s_wait_dscnt 0x0
	v_pk_add_f32 v[28:29], v[8:9], v[10:11]
	v_dual_mov_b32 v8, 0 :: v_dual_mov_b32 v10, 0
	v_mov_b32_e32 v11, 0
	ds_store_b64 v12, v[28:29]
	s_wait_dscnt 0x0
	s_barrier_signal -1
	s_barrier_wait -1
	s_and_saveexec_b32 s1, s16
	s_cbranch_execz .LBB28_26
; %bb.23:                               ;   in Loop: Header=BB28_4 Depth=1
	ds_load_b64 v[10:11], v2
	ds_load_b64 v[28:29], v21
	s_wait_dscnt 0x0
	v_cmp_eq_u64_e32 vcc_lo, v[10:11], v[28:29]
	v_dual_mov_b32 v11, 0 :: v_dual_mov_b32 v10, 0
	s_and_saveexec_b32 s10, vcc_lo
; %bb.24:                               ;   in Loop: Header=BB28_4 Depth=1
	ds_load_b64 v[10:11], v22
; %bb.25:                               ;   in Loop: Header=BB28_4 Depth=1
	s_or_b32 exec_lo, exec_lo, s10
.LBB28_26:                              ;   in Loop: Header=BB28_4 Depth=1
	;; [unrolled: 55-line block ×3, first 2 shown]
	s_delay_alu instid0(SALU_CYCLE_1)
	s_or_b32 exec_lo, exec_lo, s1
	s_wait_dscnt 0x0
	s_barrier_signal -1
	s_barrier_wait -1
	ds_load_b64 v[28:29], v12
	v_mov_b32_e32 v9, 0
	s_wait_dscnt 0x0
	v_pk_add_f32 v[10:11], v[10:11], v[28:29]
	ds_store_b64 v12, v[10:11]
	s_wait_dscnt 0x0
	s_barrier_signal -1
	s_barrier_wait -1
	s_and_saveexec_b32 s1, s9
	s_cbranch_execz .LBB28_38
; %bb.35:                               ;   in Loop: Header=BB28_4 Depth=1
	ds_load_b64 v[8:9], v2
	ds_load_b64 v[10:11], v27
	s_wait_dscnt 0x0
	v_cmp_eq_u64_e32 vcc_lo, v[8:9], v[10:11]
	v_dual_mov_b32 v9, 0 :: v_dual_mov_b32 v8, 0
	s_and_saveexec_b32 s10, vcc_lo
; %bb.36:                               ;   in Loop: Header=BB28_4 Depth=1
	ds_load_b64 v[8:9], v3
; %bb.37:                               ;   in Loop: Header=BB28_4 Depth=1
	s_or_b32 exec_lo, exec_lo, s10
.LBB28_38:                              ;   in Loop: Header=BB28_4 Depth=1
	s_delay_alu instid0(SALU_CYCLE_1)
	s_or_b32 exec_lo, exec_lo, s1
	s_wait_dscnt 0x0
	s_barrier_signal -1
	s_barrier_wait -1
	ds_load_b64 v[10:11], v12
	s_wait_dscnt 0x0
	v_pk_add_f32 v[8:9], v[8:9], v[10:11]
	v_mov_b64_e32 v[10:11], -1
	ds_store_b64 v12, v[8:9]
	s_wait_dscnt 0x0
	s_barrier_signal -1
	s_barrier_wait -1
	ds_load_b64 v[8:9], v2
	s_and_saveexec_b32 s1, s0
; %bb.39:                               ;   in Loop: Header=BB28_4 Depth=1
	ds_load_b64 v[10:11], v2 offset:8
; %bb.40:                               ;   in Loop: Header=BB28_4 Depth=1
	s_or_b32 exec_lo, exec_lo, s1
	s_wait_dscnt 0x0
	v_cmp_ne_u64_e32 vcc_lo, v[8:9], v[10:11]
	v_cmp_lt_i64_e64 s1, -1, v[8:9]
	s_and_b32 s10, s1, vcc_lo
	s_delay_alu instid0(SALU_CYCLE_1)
	s_and_saveexec_b32 s1, s10
	s_cbranch_execz .LBB28_3
; %bb.41:                               ;   in Loop: Header=BB28_4 Depth=1
	v_lshl_add_u64 v[8:9], v[8:9], 3, s[2:3]
	ds_load_b64 v[28:29], v12
	global_load_b64 v[10:11], v[8:9], off
	s_wait_loadcnt_dscnt 0x0
	v_pk_add_f32 v[10:11], v[28:29], v[10:11]
	global_store_b64 v[8:9], v[10:11], off
	s_branch .LBB28_3
.LBB28_42:
	s_endpgm
	.section	.rodata,"a",@progbits
	.p2align	6, 0x0
	.amdhsa_kernel _ZN9rocsparseL29coomvn_segmented_loops_reduceILj256El21rocsparse_complex_numIfES2_EEvT0_NS_24const_host_device_scalarIT2_EEPKS3_PKS5_PT1_b
		.amdhsa_group_segment_fixed_size 4096
		.amdhsa_private_segment_fixed_size 0
		.amdhsa_kernarg_size 44
		.amdhsa_user_sgpr_count 2
		.amdhsa_user_sgpr_dispatch_ptr 0
		.amdhsa_user_sgpr_queue_ptr 0
		.amdhsa_user_sgpr_kernarg_segment_ptr 1
		.amdhsa_user_sgpr_dispatch_id 0
		.amdhsa_user_sgpr_kernarg_preload_length 0
		.amdhsa_user_sgpr_kernarg_preload_offset 0
		.amdhsa_user_sgpr_private_segment_size 0
		.amdhsa_wavefront_size32 1
		.amdhsa_uses_dynamic_stack 0
		.amdhsa_enable_private_segment 0
		.amdhsa_system_sgpr_workgroup_id_x 1
		.amdhsa_system_sgpr_workgroup_id_y 0
		.amdhsa_system_sgpr_workgroup_id_z 0
		.amdhsa_system_sgpr_workgroup_info 0
		.amdhsa_system_vgpr_workitem_id 0
		.amdhsa_next_free_vgpr 32
		.amdhsa_next_free_sgpr 18
		.amdhsa_named_barrier_count 0
		.amdhsa_reserve_vcc 1
		.amdhsa_float_round_mode_32 0
		.amdhsa_float_round_mode_16_64 0
		.amdhsa_float_denorm_mode_32 3
		.amdhsa_float_denorm_mode_16_64 3
		.amdhsa_fp16_overflow 0
		.amdhsa_memory_ordered 1
		.amdhsa_forward_progress 1
		.amdhsa_inst_pref_size 14
		.amdhsa_round_robin_scheduling 0
		.amdhsa_exception_fp_ieee_invalid_op 0
		.amdhsa_exception_fp_denorm_src 0
		.amdhsa_exception_fp_ieee_div_zero 0
		.amdhsa_exception_fp_ieee_overflow 0
		.amdhsa_exception_fp_ieee_underflow 0
		.amdhsa_exception_fp_ieee_inexact 0
		.amdhsa_exception_int_div_zero 0
	.end_amdhsa_kernel
	.section	.text._ZN9rocsparseL29coomvn_segmented_loops_reduceILj256El21rocsparse_complex_numIfES2_EEvT0_NS_24const_host_device_scalarIT2_EEPKS3_PKS5_PT1_b,"axG",@progbits,_ZN9rocsparseL29coomvn_segmented_loops_reduceILj256El21rocsparse_complex_numIfES2_EEvT0_NS_24const_host_device_scalarIT2_EEPKS3_PKS5_PT1_b,comdat
.Lfunc_end28:
	.size	_ZN9rocsparseL29coomvn_segmented_loops_reduceILj256El21rocsparse_complex_numIfES2_EEvT0_NS_24const_host_device_scalarIT2_EEPKS3_PKS5_PT1_b, .Lfunc_end28-_ZN9rocsparseL29coomvn_segmented_loops_reduceILj256El21rocsparse_complex_numIfES2_EEvT0_NS_24const_host_device_scalarIT2_EEPKS3_PKS5_PT1_b
                                        ; -- End function
	.set _ZN9rocsparseL29coomvn_segmented_loops_reduceILj256El21rocsparse_complex_numIfES2_EEvT0_NS_24const_host_device_scalarIT2_EEPKS3_PKS5_PT1_b.num_vgpr, 32
	.set _ZN9rocsparseL29coomvn_segmented_loops_reduceILj256El21rocsparse_complex_numIfES2_EEvT0_NS_24const_host_device_scalarIT2_EEPKS3_PKS5_PT1_b.num_agpr, 0
	.set _ZN9rocsparseL29coomvn_segmented_loops_reduceILj256El21rocsparse_complex_numIfES2_EEvT0_NS_24const_host_device_scalarIT2_EEPKS3_PKS5_PT1_b.numbered_sgpr, 18
	.set _ZN9rocsparseL29coomvn_segmented_loops_reduceILj256El21rocsparse_complex_numIfES2_EEvT0_NS_24const_host_device_scalarIT2_EEPKS3_PKS5_PT1_b.num_named_barrier, 0
	.set _ZN9rocsparseL29coomvn_segmented_loops_reduceILj256El21rocsparse_complex_numIfES2_EEvT0_NS_24const_host_device_scalarIT2_EEPKS3_PKS5_PT1_b.private_seg_size, 0
	.set _ZN9rocsparseL29coomvn_segmented_loops_reduceILj256El21rocsparse_complex_numIfES2_EEvT0_NS_24const_host_device_scalarIT2_EEPKS3_PKS5_PT1_b.uses_vcc, 1
	.set _ZN9rocsparseL29coomvn_segmented_loops_reduceILj256El21rocsparse_complex_numIfES2_EEvT0_NS_24const_host_device_scalarIT2_EEPKS3_PKS5_PT1_b.uses_flat_scratch, 0
	.set _ZN9rocsparseL29coomvn_segmented_loops_reduceILj256El21rocsparse_complex_numIfES2_EEvT0_NS_24const_host_device_scalarIT2_EEPKS3_PKS5_PT1_b.has_dyn_sized_stack, 0
	.set _ZN9rocsparseL29coomvn_segmented_loops_reduceILj256El21rocsparse_complex_numIfES2_EEvT0_NS_24const_host_device_scalarIT2_EEPKS3_PKS5_PT1_b.has_recursion, 0
	.set _ZN9rocsparseL29coomvn_segmented_loops_reduceILj256El21rocsparse_complex_numIfES2_EEvT0_NS_24const_host_device_scalarIT2_EEPKS3_PKS5_PT1_b.has_indirect_call, 0
	.section	.AMDGPU.csdata,"",@progbits
; Kernel info:
; codeLenInByte = 1720
; TotalNumSgprs: 20
; NumVgprs: 32
; ScratchSize: 0
; MemoryBound: 0
; FloatMode: 240
; IeeeMode: 1
; LDSByteSize: 4096 bytes/workgroup (compile time only)
; SGPRBlocks: 0
; VGPRBlocks: 1
; NumSGPRsForWavesPerEU: 20
; NumVGPRsForWavesPerEU: 32
; NamedBarCnt: 0
; Occupancy: 16
; WaveLimiterHint : 0
; COMPUTE_PGM_RSRC2:SCRATCH_EN: 0
; COMPUTE_PGM_RSRC2:USER_SGPR: 2
; COMPUTE_PGM_RSRC2:TRAP_HANDLER: 0
; COMPUTE_PGM_RSRC2:TGID_X_EN: 1
; COMPUTE_PGM_RSRC2:TGID_Y_EN: 0
; COMPUTE_PGM_RSRC2:TGID_Z_EN: 0
; COMPUTE_PGM_RSRC2:TIDIG_COMP_CNT: 0
	.section	.text._ZN9rocsparseL13coomvt_kernelILj1024El21rocsparse_complex_numIfES2_S2_S2_EEv20rocsparse_operation_lNS_24const_host_device_scalarIT4_EEPKT0_S9_PKT1_PKT2_PT3_21rocsparse_index_base_b,"axG",@progbits,_ZN9rocsparseL13coomvt_kernelILj1024El21rocsparse_complex_numIfES2_S2_S2_EEv20rocsparse_operation_lNS_24const_host_device_scalarIT4_EEPKT0_S9_PKT1_PKT2_PT3_21rocsparse_index_base_b,comdat
	.globl	_ZN9rocsparseL13coomvt_kernelILj1024El21rocsparse_complex_numIfES2_S2_S2_EEv20rocsparse_operation_lNS_24const_host_device_scalarIT4_EEPKT0_S9_PKT1_PKT2_PT3_21rocsparse_index_base_b ; -- Begin function _ZN9rocsparseL13coomvt_kernelILj1024El21rocsparse_complex_numIfES2_S2_S2_EEv20rocsparse_operation_lNS_24const_host_device_scalarIT4_EEPKT0_S9_PKT1_PKT2_PT3_21rocsparse_index_base_b
	.p2align	8
	.type	_ZN9rocsparseL13coomvt_kernelILj1024El21rocsparse_complex_numIfES2_S2_S2_EEv20rocsparse_operation_lNS_24const_host_device_scalarIT4_EEPKT0_S9_PKT1_PKT2_PT3_21rocsparse_index_base_b,@function
_ZN9rocsparseL13coomvt_kernelILj1024El21rocsparse_complex_numIfES2_S2_S2_EEv20rocsparse_operation_lNS_24const_host_device_scalarIT4_EEPKT0_S9_PKT1_PKT2_PT3_21rocsparse_index_base_b: ; @_ZN9rocsparseL13coomvt_kernelILj1024El21rocsparse_complex_numIfES2_S2_S2_EEv20rocsparse_operation_lNS_24const_host_device_scalarIT4_EEPKT0_S9_PKT1_PKT2_PT3_21rocsparse_index_base_b
; %bb.0:
	s_clause 0x1
	s_load_b64 s[8:9], s[0:1], 0x40
	s_load_b128 s[4:7], s[0:1], 0x8
	v_mov_b32_e32 v1, 0
	s_add_nc_u64 s[2:3], s[0:1], 16
	s_wait_kmcnt 0x0
	s_bitcmp1_b32 s9, 0
	s_cselect_b32 s3, s3, s7
	s_cselect_b32 s2, s2, s6
	flat_load_b64 v[2:3], v1, s[2:3]
	s_wait_loadcnt_dscnt 0x0
	v_cmp_neq_f32_e32 vcc_lo, 0, v2
	v_cmp_neq_f32_e64 s2, 0, v3
	s_or_b32 s2, vcc_lo, s2
	s_delay_alu instid0(SALU_CYCLE_1)
	s_and_saveexec_b32 s3, s2
	s_cbranch_execz .LBB29_3
; %bb.1:
	s_load_b32 s2, s[0:1], 0x54
	s_bfe_u32 s3, ttmp6, 0x4000c
	s_and_b32 s6, ttmp6, 15
	s_add_co_i32 s3, s3, 1
	s_getreg_b32 s7, hwreg(HW_REG_IB_STS2, 6, 4)
	s_mul_i32 s3, ttmp9, s3
	s_delay_alu instid0(SALU_CYCLE_1) | instskip(SKIP_4) | instid1(SALU_CYCLE_1)
	s_add_co_i32 s6, s6, s3
	s_wait_kmcnt 0x0
	s_and_b32 s2, s2, 0xffff
	s_cmp_eq_u32 s7, 0
	s_cselect_b32 s3, ttmp9, s6
	v_mad_u32 v0, s3, s2, v0
	s_delay_alu instid0(VALU_DEP_1)
	v_cmp_gt_i64_e32 vcc_lo, s[4:5], v[0:1]
	s_and_b32 exec_lo, exec_lo, vcc_lo
	s_cbranch_execz .LBB29_3
; %bb.2:
	s_load_b256 s[12:19], s[0:1], 0x18
	v_lshlrev_b64_e32 v[0:1], 3, v[0:1]
	s_mov_b32 s9, 0
	s_load_b32 s2, s[0:1], 0x0
	s_wait_kmcnt 0x0
	s_delay_alu instid0(VALU_DEP_1)
	v_add_nc_u64_e32 v[4:5], s[12:13], v[0:1]
	v_add_nc_u64_e32 v[6:7], s[16:17], v[0:1]
	;; [unrolled: 1-line block ×3, first 2 shown]
	s_cmp_eq_u32 s2, 0x71
	s_load_b64 s[0:1], s[0:1], 0x38
	s_cselect_b32 s2, -1, 0
	global_load_b64 v[4:5], v[4:5], off
	global_load_b64 v[6:7], v[6:7], off
	s_wait_loadcnt 0x1
	s_wait_xcnt 0x1
	v_sub_nc_u64_e64 v[4:5], v[4:5], s[8:9]
	s_delay_alu instid0(VALU_DEP_1)
	v_lshl_add_u64 v[4:5], v[4:5], 3, s[18:19]
	global_load_b64 v[8:9], v[0:1], off
	global_load_b64 v[10:11], v[4:5], off
	s_wait_loadcnt 0x2
	s_wait_xcnt 0x1
	v_cndmask_b32_e64 v0, v7, -v7, s2
	s_wait_xcnt 0x0
	s_delay_alu instid0(VALU_DEP_1) | instskip(NEXT) | instid1(VALU_DEP_1)
	v_mul_f32_e64 v5, v0, -v3
	v_dual_fmac_f32 v5, v2, v6 :: v_dual_mul_f32 v4, v2, v0
	s_delay_alu instid0(VALU_DEP_1) | instskip(SKIP_3) | instid1(VALU_DEP_2)
	v_fmac_f32_e32 v4, v3, v6
	s_wait_loadcnt 0x1
	v_sub_nc_u64_e64 v[0:1], v[8:9], s[8:9]
	s_wait_loadcnt 0x0
	v_dual_mul_f32 v3, v5, v11 :: v_dual_mul_f32 v2, v11, -v4
	s_delay_alu instid0(VALU_DEP_1) | instskip(SKIP_1) | instid1(VALU_DEP_3)
	v_fmac_f32_e32 v3, v4, v10
	s_wait_kmcnt 0x0
	v_lshl_add_u64 v[0:1], v[0:1], 3, s[0:1]
	s_delay_alu instid0(VALU_DEP_3)
	v_fmac_f32_e32 v2, v5, v10
	global_atomic_add_f32 v[0:1], v2, off scope:SCOPE_DEV
	s_wait_xcnt 0x0
	global_atomic_add_f32 v[0:1], v3, off offset:4 scope:SCOPE_DEV
.LBB29_3:
	s_endpgm
	.section	.rodata,"a",@progbits
	.p2align	6, 0x0
	.amdhsa_kernel _ZN9rocsparseL13coomvt_kernelILj1024El21rocsparse_complex_numIfES2_S2_S2_EEv20rocsparse_operation_lNS_24const_host_device_scalarIT4_EEPKT0_S9_PKT1_PKT2_PT3_21rocsparse_index_base_b
		.amdhsa_group_segment_fixed_size 0
		.amdhsa_private_segment_fixed_size 0
		.amdhsa_kernarg_size 328
		.amdhsa_user_sgpr_count 2
		.amdhsa_user_sgpr_dispatch_ptr 0
		.amdhsa_user_sgpr_queue_ptr 0
		.amdhsa_user_sgpr_kernarg_segment_ptr 1
		.amdhsa_user_sgpr_dispatch_id 0
		.amdhsa_user_sgpr_kernarg_preload_length 0
		.amdhsa_user_sgpr_kernarg_preload_offset 0
		.amdhsa_user_sgpr_private_segment_size 0
		.amdhsa_wavefront_size32 1
		.amdhsa_uses_dynamic_stack 0
		.amdhsa_enable_private_segment 0
		.amdhsa_system_sgpr_workgroup_id_x 1
		.amdhsa_system_sgpr_workgroup_id_y 0
		.amdhsa_system_sgpr_workgroup_id_z 0
		.amdhsa_system_sgpr_workgroup_info 0
		.amdhsa_system_vgpr_workitem_id 0
		.amdhsa_next_free_vgpr 12
		.amdhsa_next_free_sgpr 20
		.amdhsa_named_barrier_count 0
		.amdhsa_reserve_vcc 1
		.amdhsa_float_round_mode_32 0
		.amdhsa_float_round_mode_16_64 0
		.amdhsa_float_denorm_mode_32 3
		.amdhsa_float_denorm_mode_16_64 3
		.amdhsa_fp16_overflow 0
		.amdhsa_memory_ordered 1
		.amdhsa_forward_progress 1
		.amdhsa_inst_pref_size 4
		.amdhsa_round_robin_scheduling 0
		.amdhsa_exception_fp_ieee_invalid_op 0
		.amdhsa_exception_fp_denorm_src 0
		.amdhsa_exception_fp_ieee_div_zero 0
		.amdhsa_exception_fp_ieee_overflow 0
		.amdhsa_exception_fp_ieee_underflow 0
		.amdhsa_exception_fp_ieee_inexact 0
		.amdhsa_exception_int_div_zero 0
	.end_amdhsa_kernel
	.section	.text._ZN9rocsparseL13coomvt_kernelILj1024El21rocsparse_complex_numIfES2_S2_S2_EEv20rocsparse_operation_lNS_24const_host_device_scalarIT4_EEPKT0_S9_PKT1_PKT2_PT3_21rocsparse_index_base_b,"axG",@progbits,_ZN9rocsparseL13coomvt_kernelILj1024El21rocsparse_complex_numIfES2_S2_S2_EEv20rocsparse_operation_lNS_24const_host_device_scalarIT4_EEPKT0_S9_PKT1_PKT2_PT3_21rocsparse_index_base_b,comdat
.Lfunc_end29:
	.size	_ZN9rocsparseL13coomvt_kernelILj1024El21rocsparse_complex_numIfES2_S2_S2_EEv20rocsparse_operation_lNS_24const_host_device_scalarIT4_EEPKT0_S9_PKT1_PKT2_PT3_21rocsparse_index_base_b, .Lfunc_end29-_ZN9rocsparseL13coomvt_kernelILj1024El21rocsparse_complex_numIfES2_S2_S2_EEv20rocsparse_operation_lNS_24const_host_device_scalarIT4_EEPKT0_S9_PKT1_PKT2_PT3_21rocsparse_index_base_b
                                        ; -- End function
	.set _ZN9rocsparseL13coomvt_kernelILj1024El21rocsparse_complex_numIfES2_S2_S2_EEv20rocsparse_operation_lNS_24const_host_device_scalarIT4_EEPKT0_S9_PKT1_PKT2_PT3_21rocsparse_index_base_b.num_vgpr, 12
	.set _ZN9rocsparseL13coomvt_kernelILj1024El21rocsparse_complex_numIfES2_S2_S2_EEv20rocsparse_operation_lNS_24const_host_device_scalarIT4_EEPKT0_S9_PKT1_PKT2_PT3_21rocsparse_index_base_b.num_agpr, 0
	.set _ZN9rocsparseL13coomvt_kernelILj1024El21rocsparse_complex_numIfES2_S2_S2_EEv20rocsparse_operation_lNS_24const_host_device_scalarIT4_EEPKT0_S9_PKT1_PKT2_PT3_21rocsparse_index_base_b.numbered_sgpr, 20
	.set _ZN9rocsparseL13coomvt_kernelILj1024El21rocsparse_complex_numIfES2_S2_S2_EEv20rocsparse_operation_lNS_24const_host_device_scalarIT4_EEPKT0_S9_PKT1_PKT2_PT3_21rocsparse_index_base_b.num_named_barrier, 0
	.set _ZN9rocsparseL13coomvt_kernelILj1024El21rocsparse_complex_numIfES2_S2_S2_EEv20rocsparse_operation_lNS_24const_host_device_scalarIT4_EEPKT0_S9_PKT1_PKT2_PT3_21rocsparse_index_base_b.private_seg_size, 0
	.set _ZN9rocsparseL13coomvt_kernelILj1024El21rocsparse_complex_numIfES2_S2_S2_EEv20rocsparse_operation_lNS_24const_host_device_scalarIT4_EEPKT0_S9_PKT1_PKT2_PT3_21rocsparse_index_base_b.uses_vcc, 1
	.set _ZN9rocsparseL13coomvt_kernelILj1024El21rocsparse_complex_numIfES2_S2_S2_EEv20rocsparse_operation_lNS_24const_host_device_scalarIT4_EEPKT0_S9_PKT1_PKT2_PT3_21rocsparse_index_base_b.uses_flat_scratch, 0
	.set _ZN9rocsparseL13coomvt_kernelILj1024El21rocsparse_complex_numIfES2_S2_S2_EEv20rocsparse_operation_lNS_24const_host_device_scalarIT4_EEPKT0_S9_PKT1_PKT2_PT3_21rocsparse_index_base_b.has_dyn_sized_stack, 0
	.set _ZN9rocsparseL13coomvt_kernelILj1024El21rocsparse_complex_numIfES2_S2_S2_EEv20rocsparse_operation_lNS_24const_host_device_scalarIT4_EEPKT0_S9_PKT1_PKT2_PT3_21rocsparse_index_base_b.has_recursion, 0
	.set _ZN9rocsparseL13coomvt_kernelILj1024El21rocsparse_complex_numIfES2_S2_S2_EEv20rocsparse_operation_lNS_24const_host_device_scalarIT4_EEPKT0_S9_PKT1_PKT2_PT3_21rocsparse_index_base_b.has_indirect_call, 0
	.section	.AMDGPU.csdata,"",@progbits
; Kernel info:
; codeLenInByte = 448
; TotalNumSgprs: 22
; NumVgprs: 12
; ScratchSize: 0
; MemoryBound: 0
; FloatMode: 240
; IeeeMode: 1
; LDSByteSize: 0 bytes/workgroup (compile time only)
; SGPRBlocks: 0
; VGPRBlocks: 0
; NumSGPRsForWavesPerEU: 22
; NumVGPRsForWavesPerEU: 12
; NamedBarCnt: 0
; Occupancy: 16
; WaveLimiterHint : 1
; COMPUTE_PGM_RSRC2:SCRATCH_EN: 0
; COMPUTE_PGM_RSRC2:USER_SGPR: 2
; COMPUTE_PGM_RSRC2:TRAP_HANDLER: 0
; COMPUTE_PGM_RSRC2:TGID_X_EN: 1
; COMPUTE_PGM_RSRC2:TGID_Y_EN: 0
; COMPUTE_PGM_RSRC2:TGID_Z_EN: 0
; COMPUTE_PGM_RSRC2:TIDIG_COMP_CNT: 0
	.section	.text._ZN9rocsparseL19coomvn_atomic_loopsILj256ELj1El21rocsparse_complex_numIfES2_S2_S2_EEvlNS_24const_host_device_scalarIT5_EEPKT1_S8_PKT2_PKT3_PT4_21rocsparse_index_base_b,"axG",@progbits,_ZN9rocsparseL19coomvn_atomic_loopsILj256ELj1El21rocsparse_complex_numIfES2_S2_S2_EEvlNS_24const_host_device_scalarIT5_EEPKT1_S8_PKT2_PKT3_PT4_21rocsparse_index_base_b,comdat
	.globl	_ZN9rocsparseL19coomvn_atomic_loopsILj256ELj1El21rocsparse_complex_numIfES2_S2_S2_EEvlNS_24const_host_device_scalarIT5_EEPKT1_S8_PKT2_PKT3_PT4_21rocsparse_index_base_b ; -- Begin function _ZN9rocsparseL19coomvn_atomic_loopsILj256ELj1El21rocsparse_complex_numIfES2_S2_S2_EEvlNS_24const_host_device_scalarIT5_EEPKT1_S8_PKT2_PKT3_PT4_21rocsparse_index_base_b
	.p2align	8
	.type	_ZN9rocsparseL19coomvn_atomic_loopsILj256ELj1El21rocsparse_complex_numIfES2_S2_S2_EEvlNS_24const_host_device_scalarIT5_EEPKT1_S8_PKT2_PKT3_PT4_21rocsparse_index_base_b,@function
_ZN9rocsparseL19coomvn_atomic_loopsILj256ELj1El21rocsparse_complex_numIfES2_S2_S2_EEvlNS_24const_host_device_scalarIT5_EEPKT1_S8_PKT2_PKT3_PT4_21rocsparse_index_base_b: ; @_ZN9rocsparseL19coomvn_atomic_loopsILj256ELj1El21rocsparse_complex_numIfES2_S2_S2_EEvlNS_24const_host_device_scalarIT5_EEPKT1_S8_PKT2_PKT3_PT4_21rocsparse_index_base_b
; %bb.0:
	s_clause 0x1
	s_load_b64 s[8:9], s[0:1], 0x38
	s_load_b128 s[4:7], s[0:1], 0x0
	v_mov_b32_e32 v9, 0
	s_or_b64 s[2:3], s[0:1], 8
	s_wait_kmcnt 0x0
	s_bitcmp1_b32 s9, 0
	s_cselect_b32 s3, s3, s7
	s_cselect_b32 s2, s2, s6
	flat_load_b64 v[2:3], v9, s[2:3]
	s_wait_loadcnt_dscnt 0x0
	v_cmp_neq_f32_e32 vcc_lo, 0, v2
	v_cmp_neq_f32_e64 s2, 0, v3
	s_or_b32 s2, vcc_lo, s2
	s_delay_alu instid0(SALU_CYCLE_1)
	s_and_saveexec_b32 s3, s2
	s_cbranch_execz .LBB30_40
; %bb.1:
	s_bfe_u32 s2, ttmp6, 0x4000c
	s_and_b32 s3, ttmp6, 15
	s_add_co_i32 s2, s2, 1
	s_getreg_b32 s6, hwreg(HW_REG_IB_STS2, 6, 4)
	s_mul_i32 s2, ttmp9, s2
	v_mov_b64_e32 v[4:5], -1
	s_add_co_i32 s3, s3, s2
	s_cmp_eq_u32 s6, 0
	v_mov_b64_e32 v[6:7], 0
	s_cselect_b32 s2, ttmp9, s3
	s_delay_alu instid0(SALU_CYCLE_1) | instskip(SKIP_1) | instid1(VALU_DEP_1)
	v_lshl_or_b32 v8, s2, 8, v0
	s_mov_b32 s2, exec_lo
	v_cmpx_gt_i64_e64 s[4:5], v[8:9]
	s_cbranch_execz .LBB30_3
; %bb.2:
	s_load_b256 s[12:19], s[0:1], 0x10
	v_lshlrev_b64_e32 v[4:5], 3, v[8:9]
	s_mov_b32 s9, 0
	s_wait_kmcnt 0x0
	s_delay_alu instid0(VALU_DEP_1)
	v_add_nc_u64_e32 v[6:7], s[14:15], v[4:5]
	v_add_nc_u64_e32 v[8:9], s[16:17], v[4:5]
	;; [unrolled: 1-line block ×3, first 2 shown]
	global_load_b64 v[6:7], v[6:7], off th:TH_LOAD_NT
	s_wait_loadcnt 0x0
	v_sub_nc_u64_e64 v[6:7], v[6:7], s[8:9]
	s_delay_alu instid0(VALU_DEP_1)
	v_lshl_add_u64 v[6:7], v[6:7], 3, s[18:19]
	global_load_b64 v[10:11], v[6:7], off
	global_load_b64 v[12:13], v[8:9], off th:TH_LOAD_NT
	global_load_b64 v[14:15], v[4:5], off th:TH_LOAD_NT
	s_wait_loadcnt 0x1
	s_wait_xcnt 0x2
	v_pk_mul_f32 v[6:7], v[10:11], v[12:13] op_sel:[1,1] op_sel_hi:[1,0] neg_lo:[0,1]
	s_wait_loadcnt 0x0
	v_sub_nc_u64_e64 v[4:5], v[14:15], s[8:9]
	s_delay_alu instid0(VALU_DEP_2)
	v_pk_fma_f32 v[6:7], v[12:13], v[10:11], v[6:7] op_sel_hi:[1,0,1]
.LBB30_3:
	s_or_b32 exec_lo, exec_lo, s2
	v_lshlrev_b32_e32 v1, 3, v0
	s_mov_b32 s2, exec_lo
	s_delay_alu instid0(VALU_DEP_1)
	v_or_b32_e32 v8, 0x800, v1
	ds_store_2addr_stride64_b64 v1, v[4:5], v[6:7] offset1:4
	s_wait_dscnt 0x0
	s_barrier_signal -1
	s_barrier_wait -1
	v_cmpx_ne_u32_e32 0, v0
	s_cbranch_execz .LBB30_7
; %bb.4:
	v_add_nc_u32_e32 v9, -8, v1
	s_mov_b32 s3, exec_lo
	ds_load_b64 v[10:11], v9
	s_wait_dscnt 0x0
	v_cmpx_eq_u64_e64 v[4:5], v[10:11]
	s_cbranch_execz .LBB30_6
; %bb.5:
	v_add_nc_u32_e32 v9, -8, v8
	ds_load_b64 v[10:11], v9
	s_wait_dscnt 0x0
	v_pk_add_f32 v[6:7], v[6:7], v[10:11]
.LBB30_6:
	s_or_b32 exec_lo, exec_lo, s3
.LBB30_7:
	s_delay_alu instid0(SALU_CYCLE_1) | instskip(NEXT) | instid1(SALU_CYCLE_1)
	s_or_b32 exec_lo, exec_lo, s2
	s_mov_b32 s2, exec_lo
	s_barrier_signal -1
	s_barrier_wait -1
	ds_store_b64 v8, v[6:7]
	s_wait_dscnt 0x0
	s_barrier_signal -1
	s_barrier_wait -1
	v_cmpx_lt_u32_e32 1, v0
	s_cbranch_execz .LBB30_11
; %bb.8:
	v_add_nc_u32_e32 v9, -16, v1
	s_mov_b32 s3, exec_lo
	ds_load_b64 v[10:11], v9
	s_wait_dscnt 0x0
	v_cmpx_eq_u64_e64 v[4:5], v[10:11]
	s_cbranch_execz .LBB30_10
; %bb.9:
	v_add_nc_u32_e32 v9, -16, v8
	ds_load_b64 v[10:11], v9
	s_wait_dscnt 0x0
	v_pk_add_f32 v[6:7], v[6:7], v[10:11]
.LBB30_10:
	s_or_b32 exec_lo, exec_lo, s3
.LBB30_11:
	s_delay_alu instid0(SALU_CYCLE_1) | instskip(NEXT) | instid1(SALU_CYCLE_1)
	s_or_b32 exec_lo, exec_lo, s2
	s_mov_b32 s2, exec_lo
	s_barrier_signal -1
	s_barrier_wait -1
	ds_store_b64 v8, v[6:7]
	s_wait_dscnt 0x0
	s_barrier_signal -1
	s_barrier_wait -1
	v_cmpx_lt_u32_e32 3, v0
	s_cbranch_execz .LBB30_15
; %bb.12:
	v_subrev_nc_u32_e32 v9, 32, v1
	s_mov_b32 s3, exec_lo
	ds_load_b64 v[10:11], v9
	s_wait_dscnt 0x0
	v_cmpx_eq_u64_e64 v[4:5], v[10:11]
	s_cbranch_execz .LBB30_14
; %bb.13:
	v_subrev_nc_u32_e32 v9, 32, v8
	ds_load_b64 v[10:11], v9
	s_wait_dscnt 0x0
	v_pk_add_f32 v[6:7], v[6:7], v[10:11]
.LBB30_14:
	s_or_b32 exec_lo, exec_lo, s3
.LBB30_15:
	s_delay_alu instid0(SALU_CYCLE_1) | instskip(NEXT) | instid1(SALU_CYCLE_1)
	s_or_b32 exec_lo, exec_lo, s2
	s_mov_b32 s2, exec_lo
	s_barrier_signal -1
	s_barrier_wait -1
	ds_store_b64 v8, v[6:7]
	s_wait_dscnt 0x0
	s_barrier_signal -1
	s_barrier_wait -1
	v_cmpx_lt_u32_e32 7, v0
	s_cbranch_execz .LBB30_19
; %bb.16:
	v_subrev_nc_u32_e32 v9, 64, v1
	s_mov_b32 s3, exec_lo
	ds_load_b64 v[10:11], v9
	s_wait_dscnt 0x0
	v_cmpx_eq_u64_e64 v[4:5], v[10:11]
	s_cbranch_execz .LBB30_18
; %bb.17:
	v_subrev_nc_u32_e32 v9, 64, v8
	ds_load_b64 v[10:11], v9
	s_wait_dscnt 0x0
	v_pk_add_f32 v[6:7], v[6:7], v[10:11]
.LBB30_18:
	s_or_b32 exec_lo, exec_lo, s3
.LBB30_19:
	s_delay_alu instid0(SALU_CYCLE_1) | instskip(NEXT) | instid1(SALU_CYCLE_1)
	s_or_b32 exec_lo, exec_lo, s2
	s_mov_b32 s2, exec_lo
	s_barrier_signal -1
	s_barrier_wait -1
	ds_store_b64 v8, v[6:7]
	s_wait_dscnt 0x0
	s_barrier_signal -1
	s_barrier_wait -1
	v_cmpx_lt_u32_e32 15, v0
	s_cbranch_execz .LBB30_23
; %bb.20:
	v_add_nc_u32_e32 v9, 0xffffff80, v1
	s_mov_b32 s3, exec_lo
	ds_load_b64 v[10:11], v9
	s_wait_dscnt 0x0
	v_cmpx_eq_u64_e64 v[4:5], v[10:11]
	s_cbranch_execz .LBB30_22
; %bb.21:
	v_add_nc_u32_e32 v9, 0xffffff80, v8
	ds_load_b64 v[10:11], v9
	s_wait_dscnt 0x0
	v_pk_add_f32 v[6:7], v[6:7], v[10:11]
.LBB30_22:
	s_or_b32 exec_lo, exec_lo, s3
.LBB30_23:
	s_delay_alu instid0(SALU_CYCLE_1) | instskip(NEXT) | instid1(SALU_CYCLE_1)
	s_or_b32 exec_lo, exec_lo, s2
	s_mov_b32 s2, exec_lo
	s_barrier_signal -1
	s_barrier_wait -1
	ds_store_b64 v8, v[6:7]
	s_wait_dscnt 0x0
	s_barrier_signal -1
	s_barrier_wait -1
	v_cmpx_lt_u32_e32 31, v0
	s_cbranch_execz .LBB30_27
; %bb.24:
	v_add_nc_u32_e32 v9, 0xffffff00, v1
	s_mov_b32 s3, exec_lo
	ds_load_b64 v[10:11], v9
	s_wait_dscnt 0x0
	v_cmpx_eq_u64_e64 v[4:5], v[10:11]
	s_cbranch_execz .LBB30_26
; %bb.25:
	v_add_nc_u32_e32 v9, 0xffffff00, v8
	ds_load_b64 v[10:11], v9
	s_wait_dscnt 0x0
	v_pk_add_f32 v[6:7], v[6:7], v[10:11]
.LBB30_26:
	s_or_b32 exec_lo, exec_lo, s3
.LBB30_27:
	s_delay_alu instid0(SALU_CYCLE_1) | instskip(NEXT) | instid1(SALU_CYCLE_1)
	s_or_b32 exec_lo, exec_lo, s2
	s_mov_b32 s2, exec_lo
	s_barrier_signal -1
	s_barrier_wait -1
	ds_store_b64 v8, v[6:7]
	s_wait_dscnt 0x0
	s_barrier_signal -1
	s_barrier_wait -1
	v_cmpx_lt_u32_e32 63, v0
	s_cbranch_execz .LBB30_31
; %bb.28:
	v_add_nc_u32_e32 v9, 0xfffffe00, v1
	s_mov_b32 s3, exec_lo
	ds_load_b64 v[10:11], v9
	s_wait_dscnt 0x0
	v_cmpx_eq_u64_e64 v[4:5], v[10:11]
	s_cbranch_execz .LBB30_30
; %bb.29:
	v_add_nc_u32_e32 v9, 0xfffffe00, v8
	ds_load_b64 v[10:11], v9
	s_wait_dscnt 0x0
	v_pk_add_f32 v[6:7], v[6:7], v[10:11]
.LBB30_30:
	s_or_b32 exec_lo, exec_lo, s3
.LBB30_31:
	s_delay_alu instid0(SALU_CYCLE_1) | instskip(NEXT) | instid1(SALU_CYCLE_1)
	s_or_b32 exec_lo, exec_lo, s2
	s_mov_b32 s2, exec_lo
	s_barrier_signal -1
	s_barrier_wait -1
	ds_store_b64 v8, v[6:7]
	s_wait_dscnt 0x0
	s_barrier_signal -1
	s_barrier_wait -1
	v_cmpx_lt_u32_e32 0x7f, v0
	s_cbranch_execz .LBB30_35
; %bb.32:
	v_add_nc_u32_e32 v9, 0xfffffc00, v1
	s_mov_b32 s3, exec_lo
	ds_load_b64 v[10:11], v9
	s_wait_dscnt 0x0
	v_cmpx_eq_u64_e64 v[4:5], v[10:11]
	s_cbranch_execz .LBB30_34
; %bb.33:
	v_add_nc_u32_e32 v9, 0xfffffc00, v8
	ds_load_b64 v[10:11], v9
	s_wait_dscnt 0x0
	v_pk_add_f32 v[6:7], v[6:7], v[10:11]
.LBB30_34:
	s_or_b32 exec_lo, exec_lo, s3
.LBB30_35:
	s_delay_alu instid0(SALU_CYCLE_1)
	s_or_b32 exec_lo, exec_lo, s2
	s_load_b64 s[2:3], s[0:1], 0x30
	s_wait_xcnt 0x0
	s_mov_b32 s1, exec_lo
	s_barrier_signal -1
	s_barrier_wait -1
	ds_store_b64 v8, v[6:7]
	s_wait_dscnt 0x0
	s_barrier_signal -1
	s_barrier_wait -1
	v_cmpx_gt_u32_e32 0xff, v0
	s_cbranch_execz .LBB30_38
; %bb.36:
	ds_load_b64 v[8:9], v1 offset:8
	v_cmp_lt_i64_e64 s0, -1, v[4:5]
	s_wait_dscnt 0x0
	v_cmp_ne_u64_e32 vcc_lo, v[4:5], v[8:9]
	s_and_b32 s0, s0, vcc_lo
	s_delay_alu instid0(SALU_CYCLE_1)
	s_and_b32 exec_lo, exec_lo, s0
	s_cbranch_execz .LBB30_38
; %bb.37:
	v_mul_f32_e64 v1, v7, -v3
	v_mul_f32_e32 v10, v2, v7
	s_wait_kmcnt 0x0
	v_lshl_add_u64 v[8:9], v[4:5], 3, s[2:3]
	s_delay_alu instid0(VALU_DEP_2)
	v_dual_fmac_f32 v1, v2, v6 :: v_dual_fmac_f32 v10, v3, v6
	global_atomic_add_f32 v[8:9], v1, off scope:SCOPE_DEV
	s_wait_xcnt 0x0
	global_atomic_add_f32 v[8:9], v10, off offset:4 scope:SCOPE_DEV
.LBB30_38:
	s_wait_xcnt 0x0
	s_or_b32 exec_lo, exec_lo, s1
	v_cmp_lt_i64_e32 vcc_lo, -1, v[4:5]
	v_cmp_eq_u32_e64 s0, 0xff, v0
	s_and_b32 s0, s0, vcc_lo
	s_delay_alu instid0(SALU_CYCLE_1)
	s_and_b32 exec_lo, exec_lo, s0
	s_cbranch_execz .LBB30_40
; %bb.39:
	v_mul_f32_e64 v8, v7, -v3
	v_mul_f32_e32 v7, v2, v7
	s_wait_kmcnt 0x0
	v_lshl_add_u64 v[0:1], v[4:5], 3, s[2:3]
	s_delay_alu instid0(VALU_DEP_2)
	v_dual_fmac_f32 v8, v2, v6 :: v_dual_fmac_f32 v7, v3, v6
	global_atomic_add_f32 v[0:1], v8, off scope:SCOPE_DEV
	s_wait_xcnt 0x0
	global_atomic_add_f32 v[0:1], v7, off offset:4 scope:SCOPE_DEV
.LBB30_40:
	s_endpgm
	.section	.rodata,"a",@progbits
	.p2align	6, 0x0
	.amdhsa_kernel _ZN9rocsparseL19coomvn_atomic_loopsILj256ELj1El21rocsparse_complex_numIfES2_S2_S2_EEvlNS_24const_host_device_scalarIT5_EEPKT1_S8_PKT2_PKT3_PT4_21rocsparse_index_base_b
		.amdhsa_group_segment_fixed_size 4096
		.amdhsa_private_segment_fixed_size 0
		.amdhsa_kernarg_size 64
		.amdhsa_user_sgpr_count 2
		.amdhsa_user_sgpr_dispatch_ptr 0
		.amdhsa_user_sgpr_queue_ptr 0
		.amdhsa_user_sgpr_kernarg_segment_ptr 1
		.amdhsa_user_sgpr_dispatch_id 0
		.amdhsa_user_sgpr_kernarg_preload_length 0
		.amdhsa_user_sgpr_kernarg_preload_offset 0
		.amdhsa_user_sgpr_private_segment_size 0
		.amdhsa_wavefront_size32 1
		.amdhsa_uses_dynamic_stack 0
		.amdhsa_enable_private_segment 0
		.amdhsa_system_sgpr_workgroup_id_x 1
		.amdhsa_system_sgpr_workgroup_id_y 0
		.amdhsa_system_sgpr_workgroup_id_z 0
		.amdhsa_system_sgpr_workgroup_info 0
		.amdhsa_system_vgpr_workitem_id 0
		.amdhsa_next_free_vgpr 16
		.amdhsa_next_free_sgpr 20
		.amdhsa_named_barrier_count 0
		.amdhsa_reserve_vcc 1
		.amdhsa_float_round_mode_32 0
		.amdhsa_float_round_mode_16_64 0
		.amdhsa_float_denorm_mode_32 3
		.amdhsa_float_denorm_mode_16_64 3
		.amdhsa_fp16_overflow 0
		.amdhsa_memory_ordered 1
		.amdhsa_forward_progress 1
		.amdhsa_inst_pref_size 12
		.amdhsa_round_robin_scheduling 0
		.amdhsa_exception_fp_ieee_invalid_op 0
		.amdhsa_exception_fp_denorm_src 0
		.amdhsa_exception_fp_ieee_div_zero 0
		.amdhsa_exception_fp_ieee_overflow 0
		.amdhsa_exception_fp_ieee_underflow 0
		.amdhsa_exception_fp_ieee_inexact 0
		.amdhsa_exception_int_div_zero 0
	.end_amdhsa_kernel
	.section	.text._ZN9rocsparseL19coomvn_atomic_loopsILj256ELj1El21rocsparse_complex_numIfES2_S2_S2_EEvlNS_24const_host_device_scalarIT5_EEPKT1_S8_PKT2_PKT3_PT4_21rocsparse_index_base_b,"axG",@progbits,_ZN9rocsparseL19coomvn_atomic_loopsILj256ELj1El21rocsparse_complex_numIfES2_S2_S2_EEvlNS_24const_host_device_scalarIT5_EEPKT1_S8_PKT2_PKT3_PT4_21rocsparse_index_base_b,comdat
.Lfunc_end30:
	.size	_ZN9rocsparseL19coomvn_atomic_loopsILj256ELj1El21rocsparse_complex_numIfES2_S2_S2_EEvlNS_24const_host_device_scalarIT5_EEPKT1_S8_PKT2_PKT3_PT4_21rocsparse_index_base_b, .Lfunc_end30-_ZN9rocsparseL19coomvn_atomic_loopsILj256ELj1El21rocsparse_complex_numIfES2_S2_S2_EEvlNS_24const_host_device_scalarIT5_EEPKT1_S8_PKT2_PKT3_PT4_21rocsparse_index_base_b
                                        ; -- End function
	.set _ZN9rocsparseL19coomvn_atomic_loopsILj256ELj1El21rocsparse_complex_numIfES2_S2_S2_EEvlNS_24const_host_device_scalarIT5_EEPKT1_S8_PKT2_PKT3_PT4_21rocsparse_index_base_b.num_vgpr, 16
	.set _ZN9rocsparseL19coomvn_atomic_loopsILj256ELj1El21rocsparse_complex_numIfES2_S2_S2_EEvlNS_24const_host_device_scalarIT5_EEPKT1_S8_PKT2_PKT3_PT4_21rocsparse_index_base_b.num_agpr, 0
	.set _ZN9rocsparseL19coomvn_atomic_loopsILj256ELj1El21rocsparse_complex_numIfES2_S2_S2_EEvlNS_24const_host_device_scalarIT5_EEPKT1_S8_PKT2_PKT3_PT4_21rocsparse_index_base_b.numbered_sgpr, 20
	.set _ZN9rocsparseL19coomvn_atomic_loopsILj256ELj1El21rocsparse_complex_numIfES2_S2_S2_EEvlNS_24const_host_device_scalarIT5_EEPKT1_S8_PKT2_PKT3_PT4_21rocsparse_index_base_b.num_named_barrier, 0
	.set _ZN9rocsparseL19coomvn_atomic_loopsILj256ELj1El21rocsparse_complex_numIfES2_S2_S2_EEvlNS_24const_host_device_scalarIT5_EEPKT1_S8_PKT2_PKT3_PT4_21rocsparse_index_base_b.private_seg_size, 0
	.set _ZN9rocsparseL19coomvn_atomic_loopsILj256ELj1El21rocsparse_complex_numIfES2_S2_S2_EEvlNS_24const_host_device_scalarIT5_EEPKT1_S8_PKT2_PKT3_PT4_21rocsparse_index_base_b.uses_vcc, 1
	.set _ZN9rocsparseL19coomvn_atomic_loopsILj256ELj1El21rocsparse_complex_numIfES2_S2_S2_EEvlNS_24const_host_device_scalarIT5_EEPKT1_S8_PKT2_PKT3_PT4_21rocsparse_index_base_b.uses_flat_scratch, 0
	.set _ZN9rocsparseL19coomvn_atomic_loopsILj256ELj1El21rocsparse_complex_numIfES2_S2_S2_EEvlNS_24const_host_device_scalarIT5_EEPKT1_S8_PKT2_PKT3_PT4_21rocsparse_index_base_b.has_dyn_sized_stack, 0
	.set _ZN9rocsparseL19coomvn_atomic_loopsILj256ELj1El21rocsparse_complex_numIfES2_S2_S2_EEvlNS_24const_host_device_scalarIT5_EEPKT1_S8_PKT2_PKT3_PT4_21rocsparse_index_base_b.has_recursion, 0
	.set _ZN9rocsparseL19coomvn_atomic_loopsILj256ELj1El21rocsparse_complex_numIfES2_S2_S2_EEvlNS_24const_host_device_scalarIT5_EEPKT1_S8_PKT2_PKT3_PT4_21rocsparse_index_base_b.has_indirect_call, 0
	.section	.AMDGPU.csdata,"",@progbits
; Kernel info:
; codeLenInByte = 1488
; TotalNumSgprs: 22
; NumVgprs: 16
; ScratchSize: 0
; MemoryBound: 0
; FloatMode: 240
; IeeeMode: 1
; LDSByteSize: 4096 bytes/workgroup (compile time only)
; SGPRBlocks: 0
; VGPRBlocks: 0
; NumSGPRsForWavesPerEU: 22
; NumVGPRsForWavesPerEU: 16
; NamedBarCnt: 0
; Occupancy: 16
; WaveLimiterHint : 1
; COMPUTE_PGM_RSRC2:SCRATCH_EN: 0
; COMPUTE_PGM_RSRC2:USER_SGPR: 2
; COMPUTE_PGM_RSRC2:TRAP_HANDLER: 0
; COMPUTE_PGM_RSRC2:TGID_X_EN: 1
; COMPUTE_PGM_RSRC2:TGID_Y_EN: 0
; COMPUTE_PGM_RSRC2:TGID_Z_EN: 0
; COMPUTE_PGM_RSRC2:TIDIG_COMP_CNT: 0
	.section	.text._ZN9rocsparseL19coomvn_atomic_loopsILj256ELj2El21rocsparse_complex_numIfES2_S2_S2_EEvlNS_24const_host_device_scalarIT5_EEPKT1_S8_PKT2_PKT3_PT4_21rocsparse_index_base_b,"axG",@progbits,_ZN9rocsparseL19coomvn_atomic_loopsILj256ELj2El21rocsparse_complex_numIfES2_S2_S2_EEvlNS_24const_host_device_scalarIT5_EEPKT1_S8_PKT2_PKT3_PT4_21rocsparse_index_base_b,comdat
	.globl	_ZN9rocsparseL19coomvn_atomic_loopsILj256ELj2El21rocsparse_complex_numIfES2_S2_S2_EEvlNS_24const_host_device_scalarIT5_EEPKT1_S8_PKT2_PKT3_PT4_21rocsparse_index_base_b ; -- Begin function _ZN9rocsparseL19coomvn_atomic_loopsILj256ELj2El21rocsparse_complex_numIfES2_S2_S2_EEvlNS_24const_host_device_scalarIT5_EEPKT1_S8_PKT2_PKT3_PT4_21rocsparse_index_base_b
	.p2align	8
	.type	_ZN9rocsparseL19coomvn_atomic_loopsILj256ELj2El21rocsparse_complex_numIfES2_S2_S2_EEvlNS_24const_host_device_scalarIT5_EEPKT1_S8_PKT2_PKT3_PT4_21rocsparse_index_base_b,@function
_ZN9rocsparseL19coomvn_atomic_loopsILj256ELj2El21rocsparse_complex_numIfES2_S2_S2_EEvlNS_24const_host_device_scalarIT5_EEPKT1_S8_PKT2_PKT3_PT4_21rocsparse_index_base_b: ; @_ZN9rocsparseL19coomvn_atomic_loopsILj256ELj2El21rocsparse_complex_numIfES2_S2_S2_EEvlNS_24const_host_device_scalarIT5_EEPKT1_S8_PKT2_PKT3_PT4_21rocsparse_index_base_b
; %bb.0:
	s_clause 0x1
	s_load_b64 s[24:25], s[0:1], 0x38
	s_load_b128 s[20:23], s[0:1], 0x0
	v_mov_b32_e32 v5, 0
	s_or_b64 s[2:3], s[0:1], 8
	s_wait_kmcnt 0x0
	s_bitcmp1_b32 s25, 0
	s_cselect_b32 s3, s3, s23
	s_cselect_b32 s2, s2, s22
	flat_load_b64 v[2:3], v5, s[2:3]
	s_wait_loadcnt_dscnt 0x0
	v_cmp_neq_f32_e32 vcc_lo, 0, v2
	v_cmp_neq_f32_e64 s2, 0, v3
	s_or_b32 s2, vcc_lo, s2
	s_delay_alu instid0(SALU_CYCLE_1)
	s_and_saveexec_b32 s3, s2
	s_cbranch_execz .LBB31_92
; %bb.1:
	s_bfe_u32 s2, ttmp6, 0x4000c
	s_load_b256 s[12:19], s[0:1], 0x10
	s_add_co_i32 s2, s2, 1
	s_and_b32 s3, ttmp6, 15
	s_mul_i32 s2, ttmp9, s2
	s_getreg_b32 s4, hwreg(HW_REG_IB_STS2, 6, 4)
	s_add_co_i32 s3, s3, s2
	s_cmp_eq_u32 s4, 0
	v_mov_b64_e32 v[10:11], -1
	s_cselect_b32 s2, ttmp9, s3
	v_mov_b64_e32 v[6:7], 0
	v_lshl_or_b32 v4, s2, 9, v0
	s_mov_b32 s2, exec_lo
	s_delay_alu instid0(VALU_DEP_1)
	v_lshlrev_b64_e32 v[8:9], 3, v[4:5]
	v_cmpx_gt_i64_e64 s[20:21], v[4:5]
	s_cbranch_execz .LBB31_3
; %bb.2:
	s_wait_kmcnt 0x0
	s_delay_alu instid0(VALU_DEP_2)
	v_add_nc_u64_e32 v[6:7], s[14:15], v[8:9]
	s_mov_b32 s25, 0
	v_add_nc_u64_e32 v[10:11], s[16:17], v[8:9]
	v_add_nc_u64_e32 v[12:13], s[12:13], v[8:9]
	global_load_b64 v[6:7], v[6:7], off th:TH_LOAD_NT
	s_wait_loadcnt 0x0
	v_sub_nc_u64_e64 v[6:7], v[6:7], s[24:25]
	s_delay_alu instid0(VALU_DEP_1)
	v_lshl_add_u64 v[6:7], v[6:7], 3, s[18:19]
	global_load_b64 v[14:15], v[6:7], off
	global_load_b64 v[16:17], v[10:11], off th:TH_LOAD_NT
	global_load_b64 v[18:19], v[12:13], off th:TH_LOAD_NT
	s_wait_loadcnt 0x1
	s_wait_xcnt 0x2
	v_pk_mul_f32 v[6:7], v[14:15], v[16:17] op_sel:[1,1] op_sel_hi:[1,0] neg_lo:[0,1]
	s_wait_loadcnt 0x0
	v_sub_nc_u64_e64 v[10:11], v[18:19], s[24:25]
	s_delay_alu instid0(VALU_DEP_2)
	v_pk_fma_f32 v[6:7], v[16:17], v[14:15], v[6:7] op_sel_hi:[1,0,1]
.LBB31_3:
	s_or_b32 exec_lo, exec_lo, s2
	v_lshlrev_b32_e32 v1, 3, v0
	v_cmp_ne_u32_e64 s2, 0, v0
	v_cmp_eq_u32_e32 vcc_lo, 0, v0
	s_delay_alu instid0(VALU_DEP_3)
	v_or_b32_e32 v12, 0x800, v1
	v_add_nc_u32_e32 v13, -8, v1
	ds_store_2addr_stride64_b64 v1, v[10:11], v[6:7] offset1:4
	s_wait_dscnt 0x0
	s_barrier_signal -1
	s_barrier_wait -1
	s_and_saveexec_b32 s4, s2
	s_cbranch_execz .LBB31_7
; %bb.4:
	ds_load_b64 v[14:15], v13
	s_mov_b32 s5, exec_lo
	s_wait_dscnt 0x0
	v_cmpx_eq_u64_e64 v[10:11], v[14:15]
	s_cbranch_execz .LBB31_6
; %bb.5:
	v_add_nc_u32_e32 v14, -8, v12
	ds_load_b64 v[14:15], v14
	s_wait_dscnt 0x0
	v_pk_add_f32 v[6:7], v[6:7], v[14:15]
.LBB31_6:
	s_or_b32 exec_lo, exec_lo, s5
.LBB31_7:
	s_delay_alu instid0(SALU_CYCLE_1)
	s_or_b32 exec_lo, exec_lo, s4
	v_cmp_lt_u32_e64 s3, 1, v0
	v_add_nc_u32_e32 v14, -16, v1
	s_barrier_signal -1
	s_barrier_wait -1
	ds_store_b64 v12, v[6:7]
	s_wait_dscnt 0x0
	s_barrier_signal -1
	s_barrier_wait -1
	s_and_saveexec_b32 s5, s3
	s_cbranch_execz .LBB31_11
; %bb.8:
	ds_load_b64 v[16:17], v14
	s_mov_b32 s6, exec_lo
	s_wait_dscnt 0x0
	v_cmpx_eq_u64_e64 v[10:11], v[16:17]
	s_cbranch_execz .LBB31_10
; %bb.9:
	v_add_nc_u32_e32 v15, -16, v12
	ds_load_b64 v[16:17], v15
	s_wait_dscnt 0x0
	v_pk_add_f32 v[6:7], v[6:7], v[16:17]
.LBB31_10:
	s_or_b32 exec_lo, exec_lo, s6
.LBB31_11:
	s_delay_alu instid0(SALU_CYCLE_1)
	s_or_b32 exec_lo, exec_lo, s5
	v_cmp_lt_u32_e64 s4, 3, v0
	v_subrev_nc_u32_e32 v15, 32, v1
	s_barrier_signal -1
	s_barrier_wait -1
	ds_store_b64 v12, v[6:7]
	s_wait_dscnt 0x0
	s_barrier_signal -1
	s_barrier_wait -1
	s_and_saveexec_b32 s6, s4
	s_cbranch_execz .LBB31_15
; %bb.12:
	ds_load_b64 v[16:17], v15
	s_mov_b32 s7, exec_lo
	s_wait_dscnt 0x0
	v_cmpx_eq_u64_e64 v[10:11], v[16:17]
	s_cbranch_execz .LBB31_14
; %bb.13:
	v_subrev_nc_u32_e32 v16, 32, v12
	ds_load_b64 v[16:17], v16
	s_wait_dscnt 0x0
	v_pk_add_f32 v[6:7], v[6:7], v[16:17]
.LBB31_14:
	s_or_b32 exec_lo, exec_lo, s7
.LBB31_15:
	s_delay_alu instid0(SALU_CYCLE_1)
	s_or_b32 exec_lo, exec_lo, s6
	v_cmp_lt_u32_e64 s5, 7, v0
	v_subrev_nc_u32_e32 v16, 64, v1
	s_barrier_signal -1
	s_barrier_wait -1
	ds_store_b64 v12, v[6:7]
	s_wait_dscnt 0x0
	s_barrier_signal -1
	s_barrier_wait -1
	s_and_saveexec_b32 s7, s5
	s_cbranch_execz .LBB31_19
; %bb.16:
	ds_load_b64 v[18:19], v16
	s_mov_b32 s8, exec_lo
	s_wait_dscnt 0x0
	v_cmpx_eq_u64_e64 v[10:11], v[18:19]
	s_cbranch_execz .LBB31_18
; %bb.17:
	v_subrev_nc_u32_e32 v17, 64, v12
	ds_load_b64 v[18:19], v17
	s_wait_dscnt 0x0
	v_pk_add_f32 v[6:7], v[6:7], v[18:19]
.LBB31_18:
	s_or_b32 exec_lo, exec_lo, s8
.LBB31_19:
	s_delay_alu instid0(SALU_CYCLE_1)
	s_or_b32 exec_lo, exec_lo, s7
	v_cmp_lt_u32_e64 s6, 15, v0
	v_add_nc_u32_e32 v17, 0xffffff80, v1
	s_barrier_signal -1
	s_barrier_wait -1
	ds_store_b64 v12, v[6:7]
	s_wait_dscnt 0x0
	s_barrier_signal -1
	s_barrier_wait -1
	s_and_saveexec_b32 s8, s6
	s_cbranch_execz .LBB31_23
; %bb.20:
	ds_load_b64 v[18:19], v17
	s_mov_b32 s9, exec_lo
	s_wait_dscnt 0x0
	v_cmpx_eq_u64_e64 v[10:11], v[18:19]
	s_cbranch_execz .LBB31_22
; %bb.21:
	v_add_nc_u32_e32 v18, 0xffffff80, v12
	ds_load_b64 v[18:19], v18
	s_wait_dscnt 0x0
	v_pk_add_f32 v[6:7], v[6:7], v[18:19]
.LBB31_22:
	s_or_b32 exec_lo, exec_lo, s9
.LBB31_23:
	s_delay_alu instid0(SALU_CYCLE_1)
	s_or_b32 exec_lo, exec_lo, s8
	v_cmp_lt_u32_e64 s7, 31, v0
	v_add_nc_u32_e32 v18, 0xffffff00, v1
	s_barrier_signal -1
	s_barrier_wait -1
	ds_store_b64 v12, v[6:7]
	s_wait_dscnt 0x0
	s_barrier_signal -1
	s_barrier_wait -1
	s_and_saveexec_b32 s9, s7
	s_cbranch_execz .LBB31_27
; %bb.24:
	ds_load_b64 v[20:21], v18
	s_mov_b32 s10, exec_lo
	s_wait_dscnt 0x0
	v_cmpx_eq_u64_e64 v[10:11], v[20:21]
	s_cbranch_execz .LBB31_26
; %bb.25:
	v_add_nc_u32_e32 v19, 0xffffff00, v12
	ds_load_b64 v[20:21], v19
	s_wait_dscnt 0x0
	v_pk_add_f32 v[6:7], v[6:7], v[20:21]
.LBB31_26:
	s_or_b32 exec_lo, exec_lo, s10
.LBB31_27:
	;; [unrolled: 26-line block ×4, first 2 shown]
	s_delay_alu instid0(SALU_CYCLE_1)
	s_or_b32 exec_lo, exec_lo, s11
	s_load_b64 s[22:23], s[0:1], 0x30
	s_wait_xcnt 0x0
	v_cmp_gt_u32_e64 s0, 0xff, v0
	s_barrier_signal -1
	s_barrier_wait -1
	ds_store_b64 v12, v[6:7]
	s_wait_dscnt 0x0
	s_barrier_signal -1
	s_barrier_wait -1
	s_and_saveexec_b32 s11, s0
	s_cbranch_execz .LBB31_38
; %bb.36:
	ds_load_b64 v[22:23], v1 offset:8
	v_cmp_lt_i64_e64 s10, -1, v[10:11]
	s_wait_dscnt 0x0
	v_cmp_ne_u64_e64 s1, v[10:11], v[22:23]
	s_and_b32 s1, s10, s1
	s_delay_alu instid0(SALU_CYCLE_1)
	s_and_b32 exec_lo, exec_lo, s1
	s_cbranch_execz .LBB31_38
; %bb.37:
	v_mul_f32_e64 v21, v7, -v3
	v_mul_f32_e32 v7, v2, v7
	s_wait_kmcnt 0x0
	v_lshl_add_u64 v[10:11], v[10:11], 3, s[22:23]
	s_delay_alu instid0(VALU_DEP_2)
	v_dual_fmac_f32 v21, v2, v6 :: v_dual_fmac_f32 v7, v3, v6
	global_atomic_add_f32 v[10:11], v21, off scope:SCOPE_DEV
	s_wait_xcnt 0x0
	global_atomic_add_f32 v[10:11], v7, off offset:4 scope:SCOPE_DEV
.LBB31_38:
	s_wait_xcnt 0x0
	s_or_b32 exec_lo, exec_lo, s11
	v_add_nc_u64_e32 v[6:7], 0x100, v[4:5]
	v_mov_b64_e32 v[4:5], -1
	s_delay_alu instid0(VALU_DEP_2)
	v_cmp_gt_i64_e64 s1, s[20:21], v[6:7]
	v_mov_b64_e32 v[6:7], 0
	s_and_saveexec_b32 s10, s1
	s_cbranch_execz .LBB31_40
; %bb.39:
	s_wait_kmcnt 0x0
	v_add_nc_u64_e32 v[4:5], s[14:15], v[8:9]
	s_mov_b32 s25, 0
	v_add_nc_u64_e32 v[6:7], s[16:17], v[8:9]
	v_add_nc_u64_e32 v[8:9], s[12:13], v[8:9]
	global_load_b64 v[4:5], v[4:5], off offset:2048 th:TH_LOAD_NT
	s_wait_loadcnt 0x0
	v_sub_nc_u64_e64 v[4:5], v[4:5], s[24:25]
	s_delay_alu instid0(VALU_DEP_1)
	v_lshl_add_u64 v[4:5], v[4:5], 3, s[18:19]
	global_load_b64 v[10:11], v[4:5], off
	global_load_b64 v[22:23], v[6:7], off offset:2048 th:TH_LOAD_NT
	global_load_b64 v[24:25], v[8:9], off offset:2048 th:TH_LOAD_NT
	s_wait_loadcnt 0x1
	s_wait_xcnt 0x1
	v_pk_mul_f32 v[6:7], v[10:11], v[22:23] op_sel:[1,1] op_sel_hi:[1,0] neg_lo:[0,1]
	s_wait_loadcnt 0x0
	v_sub_nc_u64_e64 v[4:5], v[24:25], s[24:25]
	s_delay_alu instid0(VALU_DEP_2)
	v_pk_fma_f32 v[6:7], v[22:23], v[10:11], v[6:7] op_sel_hi:[1,0,1]
.LBB31_40:
	s_wait_xcnt 0x0
	s_or_b32 exec_lo, exec_lo, s10
	s_and_saveexec_b32 s1, vcc_lo
	s_cbranch_execz .LBB31_55
; %bb.41:
	v_mov_b32_e32 v8, 0
	s_mov_b32 s10, exec_lo
	ds_load_b64 v[8:9], v8 offset:2040
	s_wait_dscnt 0x0
	v_cmpx_ne_u64_e64 v[4:5], v[8:9]
	s_xor_b32 s10, exec_lo, s10
	s_cbranch_execz .LBB31_52
; %bb.42:
	v_cmp_gt_i64_e32 vcc_lo, 0, v[8:9]
	s_cbranch_vccnz .LBB31_52
; %bb.43:
	v_mov_b32_e32 v10, 0
	s_wait_kmcnt 0x0
	s_mov_b32 s12, exec_lo
	s_brev_b32 s11, 1
	ds_load_b64 v[10:11], v10 offset:4088
	s_wait_dscnt 0x0
	v_mul_f32_e64 v21, v11, -v3
	s_delay_alu instid0(VALU_DEP_1)
	v_fmac_f32_e32 v21, v2, v10
.LBB31_44:                              ; =>This Inner Loop Header: Depth=1
	s_ctz_i32_b32 s13, s12
	s_delay_alu instid0(VALU_DEP_1) | instid1(SALU_CYCLE_1)
	v_readlane_b32 s14, v21, s13
	s_lshl_b32 s13, 1, s13
	s_delay_alu instid0(SALU_CYCLE_1) | instskip(NEXT) | instid1(SALU_CYCLE_1)
	s_and_not1_b32 s12, s12, s13
	s_cmp_lg_u32 s12, 0
	s_add_f32 s11, s11, s14
	s_cbranch_scc1 .LBB31_44
; %bb.45:
	v_lshlrev_b64_e32 v[8:9], 3, v[8:9]
	v_mbcnt_lo_u32_b32 v21, exec_lo, 0
	s_mov_b32 s12, exec_lo
	s_delay_alu instid0(VALU_DEP_2) | instskip(NEXT) | instid1(VALU_DEP_2)
	v_add_nc_u64_e32 v[8:9], s[22:23], v[8:9]
	v_cmpx_eq_u32_e32 0, v21
	s_xor_b32 s12, exec_lo, s12
	s_cbranch_execz .LBB31_47
; %bb.46:
	v_mov_b32_e32 v21, s11
	global_atomic_add_f32 v[8:9], v21, off scope:SCOPE_DEV
.LBB31_47:
	s_wait_xcnt 0x0
	s_or_b32 exec_lo, exec_lo, s12
	v_mul_f32_e32 v11, v2, v11
	s_mov_b32 s12, exec_lo
	s_brev_b32 s11, 1
	s_delay_alu instid0(VALU_DEP_1)
	v_fmac_f32_e32 v11, v3, v10
.LBB31_48:                              ; =>This Inner Loop Header: Depth=1
	s_ctz_i32_b32 s13, s12
	s_delay_alu instid0(VALU_DEP_1) | instid1(SALU_CYCLE_1)
	v_readlane_b32 s14, v11, s13
	s_lshl_b32 s13, 1, s13
	s_delay_alu instid0(SALU_CYCLE_1) | instskip(NEXT) | instid1(SALU_CYCLE_1)
	s_and_not1_b32 s12, s12, s13
	s_cmp_lg_u32 s12, 0
	s_add_f32 s11, s11, s14
	s_cbranch_scc1 .LBB31_48
; %bb.49:
	v_mbcnt_lo_u32_b32 v10, exec_lo, 0
	s_mov_b32 s12, exec_lo
	s_delay_alu instid0(VALU_DEP_1)
	v_cmpx_eq_u32_e32 0, v10
	s_xor_b32 s12, exec_lo, s12
	s_cbranch_execz .LBB31_51
; %bb.50:
	v_mov_b32_e32 v10, s11
	global_atomic_add_f32 v[8:9], v10, off offset:4 scope:SCOPE_DEV
.LBB31_51:
	s_wait_xcnt 0x0
	s_or_b32 exec_lo, exec_lo, s12
.LBB31_52:
	s_and_not1_saveexec_b32 s10, s10
	s_cbranch_execz .LBB31_54
; %bb.53:
	v_mov_b32_e32 v8, 0
	ds_load_b64 v[8:9], v8 offset:4088
	s_wait_dscnt 0x0
	v_pk_add_f32 v[6:7], v[6:7], v[8:9]
.LBB31_54:
	s_or_b32 exec_lo, exec_lo, s10
.LBB31_55:
	s_delay_alu instid0(SALU_CYCLE_1)
	s_or_b32 exec_lo, exec_lo, s1
	s_wait_storecnt 0x0
	s_barrier_signal -1
	s_barrier_wait -1
	ds_store_b64 v1, v[4:5]
	ds_store_b64 v12, v[6:7]
	s_wait_dscnt 0x0
	s_barrier_signal -1
	s_barrier_wait -1
	s_and_saveexec_b32 s1, s2
	s_cbranch_execz .LBB31_59
; %bb.56:
	ds_load_b64 v[8:9], v13
	s_mov_b32 s2, exec_lo
	s_wait_dscnt 0x0
	v_cmpx_eq_u64_e64 v[4:5], v[8:9]
	s_cbranch_execz .LBB31_58
; %bb.57:
	v_add_nc_u32_e32 v8, -8, v12
	ds_load_b64 v[8:9], v8
	s_wait_dscnt 0x0
	v_pk_add_f32 v[6:7], v[6:7], v[8:9]
.LBB31_58:
	s_or_b32 exec_lo, exec_lo, s2
.LBB31_59:
	s_delay_alu instid0(SALU_CYCLE_1)
	s_or_b32 exec_lo, exec_lo, s1
	s_barrier_signal -1
	s_barrier_wait -1
	ds_store_b64 v12, v[6:7]
	s_wait_dscnt 0x0
	s_barrier_signal -1
	s_barrier_wait -1
	s_and_saveexec_b32 s1, s3
	s_cbranch_execz .LBB31_63
; %bb.60:
	ds_load_b64 v[8:9], v14
	s_mov_b32 s2, exec_lo
	s_wait_dscnt 0x0
	v_cmpx_eq_u64_e64 v[4:5], v[8:9]
	s_cbranch_execz .LBB31_62
; %bb.61:
	v_add_nc_u32_e32 v8, -16, v12
	ds_load_b64 v[8:9], v8
	s_wait_dscnt 0x0
	v_pk_add_f32 v[6:7], v[6:7], v[8:9]
.LBB31_62:
	s_or_b32 exec_lo, exec_lo, s2
.LBB31_63:
	s_delay_alu instid0(SALU_CYCLE_1)
	s_or_b32 exec_lo, exec_lo, s1
	s_barrier_signal -1
	s_barrier_wait -1
	ds_store_b64 v12, v[6:7]
	s_wait_dscnt 0x0
	s_barrier_signal -1
	s_barrier_wait -1
	s_and_saveexec_b32 s1, s4
	s_cbranch_execz .LBB31_67
; %bb.64:
	ds_load_b64 v[8:9], v15
	s_mov_b32 s2, exec_lo
	s_wait_dscnt 0x0
	v_cmpx_eq_u64_e64 v[4:5], v[8:9]
	s_cbranch_execz .LBB31_66
; %bb.65:
	v_subrev_nc_u32_e32 v8, 32, v12
	ds_load_b64 v[8:9], v8
	s_wait_dscnt 0x0
	v_pk_add_f32 v[6:7], v[6:7], v[8:9]
.LBB31_66:
	s_or_b32 exec_lo, exec_lo, s2
.LBB31_67:
	s_delay_alu instid0(SALU_CYCLE_1)
	s_or_b32 exec_lo, exec_lo, s1
	s_barrier_signal -1
	s_barrier_wait -1
	ds_store_b64 v12, v[6:7]
	s_wait_dscnt 0x0
	s_barrier_signal -1
	s_barrier_wait -1
	s_and_saveexec_b32 s1, s5
	s_cbranch_execz .LBB31_71
; %bb.68:
	ds_load_b64 v[8:9], v16
	s_mov_b32 s2, exec_lo
	s_wait_dscnt 0x0
	v_cmpx_eq_u64_e64 v[4:5], v[8:9]
	s_cbranch_execz .LBB31_70
; %bb.69:
	v_subrev_nc_u32_e32 v8, 64, v12
	ds_load_b64 v[8:9], v8
	s_wait_dscnt 0x0
	v_pk_add_f32 v[6:7], v[6:7], v[8:9]
.LBB31_70:
	s_or_b32 exec_lo, exec_lo, s2
.LBB31_71:
	s_delay_alu instid0(SALU_CYCLE_1)
	s_or_b32 exec_lo, exec_lo, s1
	s_barrier_signal -1
	s_barrier_wait -1
	ds_store_b64 v12, v[6:7]
	s_wait_dscnt 0x0
	s_barrier_signal -1
	s_barrier_wait -1
	s_and_saveexec_b32 s1, s6
	s_cbranch_execz .LBB31_75
; %bb.72:
	ds_load_b64 v[8:9], v17
	s_mov_b32 s2, exec_lo
	s_wait_dscnt 0x0
	v_cmpx_eq_u64_e64 v[4:5], v[8:9]
	s_cbranch_execz .LBB31_74
; %bb.73:
	v_add_nc_u32_e32 v8, 0xffffff80, v12
	ds_load_b64 v[8:9], v8
	s_wait_dscnt 0x0
	v_pk_add_f32 v[6:7], v[6:7], v[8:9]
.LBB31_74:
	s_or_b32 exec_lo, exec_lo, s2
.LBB31_75:
	s_delay_alu instid0(SALU_CYCLE_1)
	s_or_b32 exec_lo, exec_lo, s1
	s_barrier_signal -1
	s_barrier_wait -1
	ds_store_b64 v12, v[6:7]
	s_wait_dscnt 0x0
	s_barrier_signal -1
	s_barrier_wait -1
	s_and_saveexec_b32 s1, s7
	s_cbranch_execz .LBB31_79
; %bb.76:
	ds_load_b64 v[8:9], v18
	s_mov_b32 s2, exec_lo
	s_wait_dscnt 0x0
	v_cmpx_eq_u64_e64 v[4:5], v[8:9]
	s_cbranch_execz .LBB31_78
; %bb.77:
	v_add_nc_u32_e32 v8, 0xffffff00, v12
	ds_load_b64 v[8:9], v8
	s_wait_dscnt 0x0
	v_pk_add_f32 v[6:7], v[6:7], v[8:9]
.LBB31_78:
	s_or_b32 exec_lo, exec_lo, s2
.LBB31_79:
	;; [unrolled: 24-line block ×4, first 2 shown]
	s_delay_alu instid0(SALU_CYCLE_1)
	s_or_b32 exec_lo, exec_lo, s1
	s_barrier_signal -1
	s_barrier_wait -1
	ds_store_b64 v12, v[6:7]
	s_wait_dscnt 0x0
	s_barrier_signal -1
	s_barrier_wait -1
	s_and_saveexec_b32 s1, s0
	s_cbranch_execz .LBB31_90
; %bb.88:
	ds_load_b64 v[8:9], v1 offset:8
	v_cmp_lt_i64_e64 s0, -1, v[4:5]
	s_wait_dscnt 0x0
	v_cmp_ne_u64_e32 vcc_lo, v[4:5], v[8:9]
	s_and_b32 s0, s0, vcc_lo
	s_delay_alu instid0(SALU_CYCLE_1)
	s_and_b32 exec_lo, exec_lo, s0
	s_cbranch_execz .LBB31_90
; %bb.89:
	v_mul_f32_e64 v1, v7, -v3
	v_mul_f32_e32 v10, v2, v7
	s_wait_kmcnt 0x0
	v_lshl_add_u64 v[8:9], v[4:5], 3, s[22:23]
	s_delay_alu instid0(VALU_DEP_2)
	v_dual_fmac_f32 v1, v2, v6 :: v_dual_fmac_f32 v10, v3, v6
	global_atomic_add_f32 v[8:9], v1, off scope:SCOPE_DEV
	s_wait_xcnt 0x0
	global_atomic_add_f32 v[8:9], v10, off offset:4 scope:SCOPE_DEV
.LBB31_90:
	s_wait_xcnt 0x0
	s_or_b32 exec_lo, exec_lo, s1
	v_cmp_lt_i64_e32 vcc_lo, -1, v[4:5]
	v_cmp_eq_u32_e64 s0, 0xff, v0
	s_and_b32 s0, s0, vcc_lo
	s_delay_alu instid0(SALU_CYCLE_1)
	s_and_b32 exec_lo, exec_lo, s0
	s_cbranch_execz .LBB31_92
; %bb.91:
	v_mul_f32_e64 v8, v7, -v3
	v_mul_f32_e32 v7, v2, v7
	s_wait_kmcnt 0x0
	v_lshl_add_u64 v[0:1], v[4:5], 3, s[22:23]
	s_delay_alu instid0(VALU_DEP_2)
	v_dual_fmac_f32 v8, v2, v6 :: v_dual_fmac_f32 v7, v3, v6
	global_atomic_add_f32 v[0:1], v8, off scope:SCOPE_DEV
	s_wait_xcnt 0x0
	global_atomic_add_f32 v[0:1], v7, off offset:4 scope:SCOPE_DEV
.LBB31_92:
	s_endpgm
	.section	.rodata,"a",@progbits
	.p2align	6, 0x0
	.amdhsa_kernel _ZN9rocsparseL19coomvn_atomic_loopsILj256ELj2El21rocsparse_complex_numIfES2_S2_S2_EEvlNS_24const_host_device_scalarIT5_EEPKT1_S8_PKT2_PKT3_PT4_21rocsparse_index_base_b
		.amdhsa_group_segment_fixed_size 4096
		.amdhsa_private_segment_fixed_size 0
		.amdhsa_kernarg_size 64
		.amdhsa_user_sgpr_count 2
		.amdhsa_user_sgpr_dispatch_ptr 0
		.amdhsa_user_sgpr_queue_ptr 0
		.amdhsa_user_sgpr_kernarg_segment_ptr 1
		.amdhsa_user_sgpr_dispatch_id 0
		.amdhsa_user_sgpr_kernarg_preload_length 0
		.amdhsa_user_sgpr_kernarg_preload_offset 0
		.amdhsa_user_sgpr_private_segment_size 0
		.amdhsa_wavefront_size32 1
		.amdhsa_uses_dynamic_stack 0
		.amdhsa_enable_private_segment 0
		.amdhsa_system_sgpr_workgroup_id_x 1
		.amdhsa_system_sgpr_workgroup_id_y 0
		.amdhsa_system_sgpr_workgroup_id_z 0
		.amdhsa_system_sgpr_workgroup_info 0
		.amdhsa_system_vgpr_workitem_id 0
		.amdhsa_next_free_vgpr 26
		.amdhsa_next_free_sgpr 26
		.amdhsa_named_barrier_count 0
		.amdhsa_reserve_vcc 1
		.amdhsa_float_round_mode_32 0
		.amdhsa_float_round_mode_16_64 0
		.amdhsa_float_denorm_mode_32 3
		.amdhsa_float_denorm_mode_16_64 3
		.amdhsa_fp16_overflow 0
		.amdhsa_memory_ordered 1
		.amdhsa_forward_progress 1
		.amdhsa_inst_pref_size 24
		.amdhsa_round_robin_scheduling 0
		.amdhsa_exception_fp_ieee_invalid_op 0
		.amdhsa_exception_fp_denorm_src 0
		.amdhsa_exception_fp_ieee_div_zero 0
		.amdhsa_exception_fp_ieee_overflow 0
		.amdhsa_exception_fp_ieee_underflow 0
		.amdhsa_exception_fp_ieee_inexact 0
		.amdhsa_exception_int_div_zero 0
	.end_amdhsa_kernel
	.section	.text._ZN9rocsparseL19coomvn_atomic_loopsILj256ELj2El21rocsparse_complex_numIfES2_S2_S2_EEvlNS_24const_host_device_scalarIT5_EEPKT1_S8_PKT2_PKT3_PT4_21rocsparse_index_base_b,"axG",@progbits,_ZN9rocsparseL19coomvn_atomic_loopsILj256ELj2El21rocsparse_complex_numIfES2_S2_S2_EEvlNS_24const_host_device_scalarIT5_EEPKT1_S8_PKT2_PKT3_PT4_21rocsparse_index_base_b,comdat
.Lfunc_end31:
	.size	_ZN9rocsparseL19coomvn_atomic_loopsILj256ELj2El21rocsparse_complex_numIfES2_S2_S2_EEvlNS_24const_host_device_scalarIT5_EEPKT1_S8_PKT2_PKT3_PT4_21rocsparse_index_base_b, .Lfunc_end31-_ZN9rocsparseL19coomvn_atomic_loopsILj256ELj2El21rocsparse_complex_numIfES2_S2_S2_EEvlNS_24const_host_device_scalarIT5_EEPKT1_S8_PKT2_PKT3_PT4_21rocsparse_index_base_b
                                        ; -- End function
	.set _ZN9rocsparseL19coomvn_atomic_loopsILj256ELj2El21rocsparse_complex_numIfES2_S2_S2_EEvlNS_24const_host_device_scalarIT5_EEPKT1_S8_PKT2_PKT3_PT4_21rocsparse_index_base_b.num_vgpr, 26
	.set _ZN9rocsparseL19coomvn_atomic_loopsILj256ELj2El21rocsparse_complex_numIfES2_S2_S2_EEvlNS_24const_host_device_scalarIT5_EEPKT1_S8_PKT2_PKT3_PT4_21rocsparse_index_base_b.num_agpr, 0
	.set _ZN9rocsparseL19coomvn_atomic_loopsILj256ELj2El21rocsparse_complex_numIfES2_S2_S2_EEvlNS_24const_host_device_scalarIT5_EEPKT1_S8_PKT2_PKT3_PT4_21rocsparse_index_base_b.numbered_sgpr, 26
	.set _ZN9rocsparseL19coomvn_atomic_loopsILj256ELj2El21rocsparse_complex_numIfES2_S2_S2_EEvlNS_24const_host_device_scalarIT5_EEPKT1_S8_PKT2_PKT3_PT4_21rocsparse_index_base_b.num_named_barrier, 0
	.set _ZN9rocsparseL19coomvn_atomic_loopsILj256ELj2El21rocsparse_complex_numIfES2_S2_S2_EEvlNS_24const_host_device_scalarIT5_EEPKT1_S8_PKT2_PKT3_PT4_21rocsparse_index_base_b.private_seg_size, 0
	.set _ZN9rocsparseL19coomvn_atomic_loopsILj256ELj2El21rocsparse_complex_numIfES2_S2_S2_EEvlNS_24const_host_device_scalarIT5_EEPKT1_S8_PKT2_PKT3_PT4_21rocsparse_index_base_b.uses_vcc, 1
	.set _ZN9rocsparseL19coomvn_atomic_loopsILj256ELj2El21rocsparse_complex_numIfES2_S2_S2_EEvlNS_24const_host_device_scalarIT5_EEPKT1_S8_PKT2_PKT3_PT4_21rocsparse_index_base_b.uses_flat_scratch, 0
	.set _ZN9rocsparseL19coomvn_atomic_loopsILj256ELj2El21rocsparse_complex_numIfES2_S2_S2_EEvlNS_24const_host_device_scalarIT5_EEPKT1_S8_PKT2_PKT3_PT4_21rocsparse_index_base_b.has_dyn_sized_stack, 0
	.set _ZN9rocsparseL19coomvn_atomic_loopsILj256ELj2El21rocsparse_complex_numIfES2_S2_S2_EEvlNS_24const_host_device_scalarIT5_EEPKT1_S8_PKT2_PKT3_PT4_21rocsparse_index_base_b.has_recursion, 0
	.set _ZN9rocsparseL19coomvn_atomic_loopsILj256ELj2El21rocsparse_complex_numIfES2_S2_S2_EEvlNS_24const_host_device_scalarIT5_EEPKT1_S8_PKT2_PKT3_PT4_21rocsparse_index_base_b.has_indirect_call, 0
	.section	.AMDGPU.csdata,"",@progbits
; Kernel info:
; codeLenInByte = 3040
; TotalNumSgprs: 28
; NumVgprs: 26
; ScratchSize: 0
; MemoryBound: 0
; FloatMode: 240
; IeeeMode: 1
; LDSByteSize: 4096 bytes/workgroup (compile time only)
; SGPRBlocks: 0
; VGPRBlocks: 1
; NumSGPRsForWavesPerEU: 28
; NumVGPRsForWavesPerEU: 26
; NamedBarCnt: 0
; Occupancy: 16
; WaveLimiterHint : 1
; COMPUTE_PGM_RSRC2:SCRATCH_EN: 0
; COMPUTE_PGM_RSRC2:USER_SGPR: 2
; COMPUTE_PGM_RSRC2:TRAP_HANDLER: 0
; COMPUTE_PGM_RSRC2:TGID_X_EN: 1
; COMPUTE_PGM_RSRC2:TGID_Y_EN: 0
; COMPUTE_PGM_RSRC2:TGID_Z_EN: 0
; COMPUTE_PGM_RSRC2:TIDIG_COMP_CNT: 0
	.section	.text._ZN9rocsparseL22coomvn_segmented_loopsILj256Ei21rocsparse_complex_numIdES2_S2_S2_EEvlT0_NS_24const_host_device_scalarIT4_EEPKS3_S8_PKT1_PKT2_PT3_PS3_PS5_21rocsparse_index_base_b,"axG",@progbits,_ZN9rocsparseL22coomvn_segmented_loopsILj256Ei21rocsparse_complex_numIdES2_S2_S2_EEvlT0_NS_24const_host_device_scalarIT4_EEPKS3_S8_PKT1_PKT2_PT3_PS3_PS5_21rocsparse_index_base_b,comdat
	.globl	_ZN9rocsparseL22coomvn_segmented_loopsILj256Ei21rocsparse_complex_numIdES2_S2_S2_EEvlT0_NS_24const_host_device_scalarIT4_EEPKS3_S8_PKT1_PKT2_PT3_PS3_PS5_21rocsparse_index_base_b ; -- Begin function _ZN9rocsparseL22coomvn_segmented_loopsILj256Ei21rocsparse_complex_numIdES2_S2_S2_EEvlT0_NS_24const_host_device_scalarIT4_EEPKS3_S8_PKT1_PKT2_PT3_PS3_PS5_21rocsparse_index_base_b
	.p2align	8
	.type	_ZN9rocsparseL22coomvn_segmented_loopsILj256Ei21rocsparse_complex_numIdES2_S2_S2_EEvlT0_NS_24const_host_device_scalarIT4_EEPKS3_S8_PKT1_PKT2_PT3_PS3_PS5_21rocsparse_index_base_b,@function
_ZN9rocsparseL22coomvn_segmented_loopsILj256Ei21rocsparse_complex_numIdES2_S2_S2_EEvlT0_NS_24const_host_device_scalarIT4_EEPKS3_S8_PKT1_PKT2_PT3_PS3_PS5_21rocsparse_index_base_b: ; @_ZN9rocsparseL22coomvn_segmented_loopsILj256Ei21rocsparse_complex_numIdES2_S2_S2_EEvlT0_NS_24const_host_device_scalarIT4_EEPKS3_S8_PKT1_PKT2_PT3_PS3_PS5_21rocsparse_index_base_b
; %bb.0:
	s_clause 0x1
	s_load_b64 s[28:29], s[0:1], 0x58
	s_load_b64 s[2:3], s[0:1], 0x10
	v_mov_b32_e32 v11, 0
	s_add_nc_u64 s[4:5], s[0:1], 16
	s_wait_kmcnt 0x0
	s_bitcmp1_b32 s29, 0
	s_cselect_b32 s3, s5, s3
	s_cselect_b32 s2, s4, s2
	flat_load_b128 v[2:5], v11, s[2:3]
	s_wait_loadcnt_dscnt 0x0
	v_cmp_neq_f64_e32 vcc_lo, 0, v[2:3]
	v_cmp_neq_f64_e64 s2, 0, v[4:5]
	s_or_b32 s2, vcc_lo, s2
	s_delay_alu instid0(SALU_CYCLE_1)
	s_and_saveexec_b32 s3, s2
	s_cbranch_execz .LBB32_87
; %bb.1:
	s_clause 0x1
	s_load_b96 s[24:26], s[0:1], 0x0
	s_load_b256 s[16:23], s[0:1], 0x20
	s_bfe_u32 s2, ttmp6, 0x4000c
	s_and_b32 s3, ttmp6, 15
	s_add_co_i32 s2, s2, 1
	s_getreg_b32 s4, hwreg(HW_REG_IB_STS2, 6, 4)
	s_mul_i32 s2, ttmp9, s2
	v_mov_b64_e32 v[6:7], 0
	s_add_co_i32 s3, s3, s2
	s_cmp_eq_u32 s4, 0
	v_mov_b32_e32 v20, -1
	s_cselect_b32 s27, ttmp9, s3
	s_delay_alu instid0(VALU_DEP_2) | instskip(SKIP_2) | instid1(SALU_CYCLE_1)
	v_mov_b64_e32 v[8:9], v[6:7]
	s_wait_kmcnt 0x0
	s_mul_i32 s2, s27, s26
	v_lshl_or_b32 v10, s2, 8, v0
	s_mov_b32 s2, exec_lo
	s_delay_alu instid0(VALU_DEP_1)
	v_lshl_add_u64 v[14:15], v[10:11], 4, s[20:21]
	v_cmpx_gt_i64_e64 s[24:25], v[10:11]
	s_cbranch_execz .LBB32_3
; %bb.2:
	v_lshlrev_b64_e32 v[6:7], 2, v[10:11]
	s_ashr_i32 s29, s28, 31
	s_delay_alu instid0(SALU_CYCLE_1) | instskip(NEXT) | instid1(VALU_DEP_1)
	s_lshl_b64 s[4:5], s[28:29], 4
	v_add_nc_u64_e32 v[8:9], s[18:19], v[6:7]
	v_add_nc_u64_e32 v[6:7], s[16:17], v[6:7]
	global_load_b32 v8, v[8:9], off th:TH_LOAD_NT
	s_wait_loadcnt 0x0
	v_ashrrev_i32_e32 v9, 31, v8
	s_delay_alu instid0(VALU_DEP_1) | instskip(NEXT) | instid1(VALU_DEP_1)
	v_lshl_add_u64 v[8:9], v[8:9], 4, s[22:23]
	v_sub_nc_u64_e64 v[8:9], v[8:9], s[4:5]
	global_load_b128 v[16:19], v[14:15], off th:TH_LOAD_NT
	global_load_b128 v[20:23], v[8:9], off
	global_load_b32 v1, v[6:7], off th:TH_LOAD_NT
	s_wait_loadcnt 0x1
	s_wait_xcnt 0x0
	v_mul_f64_e64 v[6:7], v[22:23], -v[18:19]
	v_mul_f64_e32 v[8:9], v[16:17], v[22:23]
	s_delay_alu instid0(VALU_DEP_2) | instskip(NEXT) | instid1(VALU_DEP_2)
	v_fmac_f64_e32 v[6:7], v[16:17], v[20:21]
	v_fmac_f64_e32 v[8:9], v[18:19], v[20:21]
	s_wait_loadcnt 0x0
	v_subrev_nc_u32_e32 v20, s28, v1
.LBB32_3:
	s_or_b32 exec_lo, exec_lo, s2
	v_dual_lshlrev_b32 v12, 2, v0 :: v_dual_lshlrev_b32 v1, 4, v0
	v_cmp_eq_u32_e64 s2, 0, v0
	v_cmp_ne_u32_e64 s3, 0, v0
	ds_store_b32 v12, v20 offset:4096
	ds_store_b128 v1, v[6:9]
	v_or_b32_e32 v18, 0x1000, v12
	s_wait_dscnt 0x0
	s_barrier_signal -1
	s_barrier_wait -1
	s_delay_alu instid0(VALU_DEP_1)
	v_add_nc_u32_e32 v19, -4, v18
	s_and_saveexec_b32 s4, s3
	s_cbranch_execz .LBB32_7
; %bb.4:
	ds_load_b32 v12, v19
	s_mov_b32 s5, exec_lo
	s_wait_dscnt 0x0
	v_cmpx_eq_u32_e64 v20, v12
	s_cbranch_execz .LBB32_6
; %bb.5:
	v_add_nc_u32_e32 v12, -16, v1
	ds_load_b128 v[22:25], v12
	s_wait_dscnt 0x0
	v_add_f64_e32 v[6:7], v[6:7], v[22:23]
	v_add_f64_e32 v[8:9], v[8:9], v[24:25]
.LBB32_6:
	s_or_b32 exec_lo, exec_lo, s5
.LBB32_7:
	s_delay_alu instid0(SALU_CYCLE_1)
	s_or_b32 exec_lo, exec_lo, s4
	v_cmp_lt_u32_e64 s4, 1, v0
	v_add_nc_u32_e32 v21, -8, v18
	s_barrier_signal -1
	s_barrier_wait -1
	ds_store_b128 v1, v[6:9]
	s_wait_dscnt 0x0
	s_barrier_signal -1
	s_barrier_wait -1
	s_and_saveexec_b32 s5, s4
	s_cbranch_execz .LBB32_11
; %bb.8:
	ds_load_b32 v12, v21
	s_mov_b32 s6, exec_lo
	s_wait_dscnt 0x0
	v_cmpx_eq_u32_e64 v20, v12
	s_cbranch_execz .LBB32_10
; %bb.9:
	v_subrev_nc_u32_e32 v12, 32, v1
	ds_load_b128 v[22:25], v12
	s_wait_dscnt 0x0
	v_add_f64_e32 v[6:7], v[6:7], v[22:23]
	v_add_f64_e32 v[8:9], v[8:9], v[24:25]
.LBB32_10:
	s_or_b32 exec_lo, exec_lo, s6
.LBB32_11:
	s_delay_alu instid0(SALU_CYCLE_1)
	s_or_b32 exec_lo, exec_lo, s5
	v_cmp_lt_u32_e64 s5, 3, v0
	v_add_nc_u32_e32 v22, -16, v18
	s_barrier_signal -1
	s_barrier_wait -1
	ds_store_b128 v1, v[6:9]
	s_wait_dscnt 0x0
	s_barrier_signal -1
	s_barrier_wait -1
	s_and_saveexec_b32 s6, s5
	s_cbranch_execz .LBB32_15
; %bb.12:
	ds_load_b32 v12, v22
	s_mov_b32 s7, exec_lo
	s_wait_dscnt 0x0
	v_cmpx_eq_u32_e64 v20, v12
	s_cbranch_execz .LBB32_14
; %bb.13:
	v_subrev_nc_u32_e32 v12, 64, v1
	ds_load_b128 v[24:27], v12
	s_wait_dscnt 0x0
	v_add_f64_e32 v[6:7], v[6:7], v[24:25]
	v_add_f64_e32 v[8:9], v[8:9], v[26:27]
.LBB32_14:
	s_or_b32 exec_lo, exec_lo, s7
.LBB32_15:
	s_delay_alu instid0(SALU_CYCLE_1)
	s_or_b32 exec_lo, exec_lo, s6
	v_cmp_lt_u32_e64 s6, 7, v0
	v_subrev_nc_u32_e32 v23, 32, v18
	s_barrier_signal -1
	s_barrier_wait -1
	ds_store_b128 v1, v[6:9]
	s_wait_dscnt 0x0
	s_barrier_signal -1
	s_barrier_wait -1
	s_and_saveexec_b32 s7, s6
	s_cbranch_execz .LBB32_19
; %bb.16:
	ds_load_b32 v12, v23
	s_mov_b32 s8, exec_lo
	s_wait_dscnt 0x0
	v_cmpx_eq_u32_e64 v20, v12
	s_cbranch_execz .LBB32_18
; %bb.17:
	v_add_nc_u32_e32 v12, 0xffffff80, v1
	ds_load_b128 v[24:27], v12
	s_wait_dscnt 0x0
	v_add_f64_e32 v[6:7], v[6:7], v[24:25]
	v_add_f64_e32 v[8:9], v[8:9], v[26:27]
.LBB32_18:
	s_or_b32 exec_lo, exec_lo, s8
.LBB32_19:
	s_delay_alu instid0(SALU_CYCLE_1)
	s_or_b32 exec_lo, exec_lo, s7
	v_cmp_lt_u32_e64 s7, 15, v0
	v_subrev_nc_u32_e32 v24, 64, v18
	s_barrier_signal -1
	s_barrier_wait -1
	ds_store_b128 v1, v[6:9]
	s_wait_dscnt 0x0
	s_barrier_signal -1
	s_barrier_wait -1
	s_and_saveexec_b32 s8, s7
	s_cbranch_execz .LBB32_23
; %bb.20:
	ds_load_b32 v12, v24
	s_mov_b32 s9, exec_lo
	s_wait_dscnt 0x0
	v_cmpx_eq_u32_e64 v20, v12
	s_cbranch_execz .LBB32_22
; %bb.21:
	v_add_nc_u32_e32 v12, 0xffffff00, v1
	ds_load_b128 v[26:29], v12
	s_wait_dscnt 0x0
	v_add_f64_e32 v[6:7], v[6:7], v[26:27]
	v_add_f64_e32 v[8:9], v[8:9], v[28:29]
.LBB32_22:
	s_or_b32 exec_lo, exec_lo, s9
.LBB32_23:
	s_delay_alu instid0(SALU_CYCLE_1)
	s_or_b32 exec_lo, exec_lo, s8
	v_cmp_lt_u32_e64 s8, 31, v0
	v_add_nc_u32_e32 v25, 0xffffff80, v18
	s_barrier_signal -1
	s_barrier_wait -1
	ds_store_b128 v1, v[6:9]
	s_wait_dscnt 0x0
	s_barrier_signal -1
	s_barrier_wait -1
	s_and_saveexec_b32 s9, s8
	s_cbranch_execz .LBB32_27
; %bb.24:
	ds_load_b32 v12, v25
	s_mov_b32 s10, exec_lo
	s_wait_dscnt 0x0
	v_cmpx_eq_u32_e64 v20, v12
	s_cbranch_execz .LBB32_26
; %bb.25:
	v_add_nc_u32_e32 v12, 0xfffffe00, v1
	ds_load_b128 v[26:29], v12
	s_wait_dscnt 0x0
	v_add_f64_e32 v[6:7], v[6:7], v[26:27]
	v_add_f64_e32 v[8:9], v[8:9], v[28:29]
.LBB32_26:
	s_or_b32 exec_lo, exec_lo, s10
.LBB32_27:
	s_delay_alu instid0(SALU_CYCLE_1)
	s_or_b32 exec_lo, exec_lo, s9
	v_cmp_lt_u32_e64 s9, 63, v0
	v_add_nc_u32_e32 v26, 0xffffff00, v18
	s_barrier_signal -1
	s_barrier_wait -1
	ds_store_b128 v1, v[6:9]
	s_wait_dscnt 0x0
	s_barrier_signal -1
	s_barrier_wait -1
	s_and_saveexec_b32 s10, s9
	s_cbranch_execz .LBB32_31
; %bb.28:
	ds_load_b32 v12, v26
	s_mov_b32 s11, exec_lo
	s_wait_dscnt 0x0
	v_cmpx_eq_u32_e64 v20, v12
	s_cbranch_execz .LBB32_30
; %bb.29:
	v_add_nc_u32_e32 v12, 0xfffffc00, v1
	ds_load_b128 v[28:31], v12
	s_wait_dscnt 0x0
	v_add_f64_e32 v[6:7], v[6:7], v[28:29]
	v_add_f64_e32 v[8:9], v[8:9], v[30:31]
.LBB32_30:
	s_or_b32 exec_lo, exec_lo, s11
.LBB32_31:
	s_delay_alu instid0(SALU_CYCLE_1)
	s_or_b32 exec_lo, exec_lo, s10
	s_load_b64 s[20:21], s[0:1], 0x40
	v_cmp_lt_u32_e64 s10, 0x7f, v0
	v_add_nc_u32_e32 v27, 0xfffffe00, v18
	s_barrier_signal -1
	s_barrier_wait -1
	ds_store_b128 v1, v[6:9]
	s_wait_dscnt 0x0
	s_barrier_signal -1
	s_barrier_wait -1
	s_and_saveexec_b32 s11, s10
	s_cbranch_execz .LBB32_35
; %bb.32:
	ds_load_b32 v12, v27
	s_mov_b32 s12, exec_lo
	s_wait_dscnt 0x0
	v_cmpx_eq_u32_e64 v20, v12
	s_cbranch_execz .LBB32_34
; %bb.33:
	v_add_nc_u32_e32 v12, 0xfffff800, v1
	ds_load_b128 v[28:31], v12
	s_wait_dscnt 0x0
	v_add_f64_e32 v[6:7], v[6:7], v[28:29]
	v_add_f64_e32 v[8:9], v[8:9], v[30:31]
.LBB32_34:
	s_or_b32 exec_lo, exec_lo, s12
.LBB32_35:
	s_delay_alu instid0(SALU_CYCLE_1)
	s_or_b32 exec_lo, exec_lo, s11
	v_cmp_gt_u32_e64 s11, 0xff, v0
	s_barrier_signal -1
	s_barrier_wait -1
	ds_store_b128 v1, v[6:9]
	s_wait_dscnt 0x0
	s_barrier_signal -1
	s_barrier_wait -1
	s_and_saveexec_b32 s13, s11
	s_cbranch_execz .LBB32_38
; %bb.36:
	ds_load_b32 v12, v18 offset:4
	v_cmp_lt_i32_e64 s12, -1, v20
	s_wait_dscnt 0x0
	v_cmp_ne_u32_e32 vcc_lo, v20, v12
	s_and_b32 s12, s12, vcc_lo
	s_delay_alu instid0(SALU_CYCLE_1)
	s_and_b32 exec_lo, exec_lo, s12
	s_cbranch_execz .LBB32_38
; %bb.37:
	s_wait_kmcnt 0x0
	global_load_b128 v[28:31], v20, s[20:21] scale_offset
	s_wait_loadcnt 0x0
	v_fmac_f64_e32 v[28:29], v[2:3], v[6:7]
	v_fmac_f64_e32 v[30:31], v[4:5], v[6:7]
	s_delay_alu instid0(VALU_DEP_2) | instskip(NEXT) | instid1(VALU_DEP_2)
	v_fma_f64 v[28:29], -v[4:5], v[8:9], v[28:29]
	v_fmac_f64_e32 v[30:31], v[2:3], v[8:9]
	global_store_b128 v20, v[28:31], s[20:21] scale_offset
.LBB32_38:
	s_wait_xcnt 0x0
	s_or_b32 exec_lo, exec_lo, s13
	s_load_b128 s[12:15], s[0:1], 0x48
	s_cmp_lt_i32 s26, 2
	s_cbranch_scc1 .LBB32_85
; %bb.39:
	v_lshl_add_u64 v[6:7], v[10:11], 2, 0x400
	v_add_nc_u64_e32 v[14:15], 0x1000, v[14:15]
	v_add_nc_u64_e32 v[10:11], 0x100, v[10:11]
	s_ashr_i32 s29, s28, 31
	v_dual_add_nc_u32 v28, -16, v1 :: v_dual_mov_b32 v36, 0
	v_add_nc_u64_e32 v[12:13], s[18:19], v[6:7]
	v_add_nc_u64_e32 v[16:17], s[16:17], v[6:7]
	v_subrev_nc_u32_e32 v29, 32, v1
	v_subrev_nc_u32_e32 v30, 64, v1
	v_add_nc_u32_e32 v31, 0xffffff80, v1
	v_add_nc_u32_e32 v32, 0xffffff00, v1
	;; [unrolled: 1-line block ×5, first 2 shown]
	s_wait_xcnt 0x0
	s_lshl_b64 s[0:1], s[28:29], 4
	s_delay_alu instid0(SALU_CYCLE_1)
	s_sub_nc_u64 s[16:17], s[22:23], s[0:1]
	s_add_co_i32 s1, s26, -1
	s_branch .LBB32_41
.LBB32_40:                              ;   in Loop: Header=BB32_41 Depth=1
	s_wait_xcnt 0x0
	s_or_b32 exec_lo, exec_lo, s18
	v_add_nc_u64_e32 v[12:13], 0x400, v[12:13]
	v_add_nc_u64_e32 v[14:15], 0x1000, v[14:15]
	;; [unrolled: 1-line block ×4, first 2 shown]
	s_add_co_i32 s1, s1, -1
	s_delay_alu instid0(SALU_CYCLE_1)
	s_cmp_eq_u32 s1, 0
	s_cbranch_scc1 .LBB32_85
.LBB32_41:                              ; =>This Inner Loop Header: Depth=1
	v_mov_b64_e32 v[6:7], 0
	v_mov_b64_e32 v[8:9], 0
	v_mov_b32_e32 v20, -1
	s_mov_b32 s0, exec_lo
	v_cmpx_gt_i64_e64 s[24:25], v[10:11]
	s_cbranch_execz .LBB32_43
; %bb.42:                               ;   in Loop: Header=BB32_41 Depth=1
	global_load_b32 v6, v[12:13], off th:TH_LOAD_NT
	global_load_b128 v[38:41], v[14:15], off th:TH_LOAD_NT
	s_wait_loadcnt 0x1
	global_load_b128 v[42:45], v6, s[16:17] scale_offset
	global_load_b32 v20, v[16:17], off th:TH_LOAD_NT
	s_wait_loadcnt 0x1
	s_wait_xcnt 0x1
	v_mul_f64_e64 v[6:7], v[44:45], -v[40:41]
	v_mul_f64_e32 v[8:9], v[38:39], v[44:45]
	s_wait_loadcnt 0x0
	v_subrev_nc_u32_e32 v20, s28, v20
	s_delay_alu instid0(VALU_DEP_3) | instskip(NEXT) | instid1(VALU_DEP_3)
	v_fmac_f64_e32 v[6:7], v[38:39], v[42:43]
	v_fmac_f64_e32 v[8:9], v[40:41], v[42:43]
.LBB32_43:                              ;   in Loop: Header=BB32_41 Depth=1
	s_wait_xcnt 0x0
	s_or_b32 exec_lo, exec_lo, s0
	s_and_saveexec_b32 s0, s2
	s_cbranch_execz .LBB32_50
; %bb.44:                               ;   in Loop: Header=BB32_41 Depth=1
	ds_load_b32 v37, v36 offset:5116
	s_mov_b32 s18, exec_lo
	s_wait_dscnt 0x0
	v_cmpx_ne_u32_e64 v20, v37
	s_xor_b32 s18, exec_lo, s18
	s_cbranch_execz .LBB32_47
; %bb.45:                               ;   in Loop: Header=BB32_41 Depth=1
	v_cmp_gt_i32_e32 vcc_lo, 0, v37
	s_cbranch_vccnz .LBB32_47
; %bb.46:                               ;   in Loop: Header=BB32_41 Depth=1
	s_wait_kmcnt 0x0
	global_load_b128 v[38:41], v37, s[20:21] scale_offset
	ds_load_b128 v[42:45], v36 offset:4080
	s_wait_loadcnt_dscnt 0x0
	v_fmac_f64_e32 v[38:39], v[2:3], v[42:43]
	v_fmac_f64_e32 v[40:41], v[4:5], v[42:43]
	s_delay_alu instid0(VALU_DEP_2) | instskip(NEXT) | instid1(VALU_DEP_2)
	v_fma_f64 v[38:39], -v[4:5], v[44:45], v[38:39]
	v_fmac_f64_e32 v[40:41], v[2:3], v[44:45]
	global_store_b128 v37, v[38:41], s[20:21] scale_offset
.LBB32_47:                              ;   in Loop: Header=BB32_41 Depth=1
	s_wait_xcnt 0x0
	s_and_not1_saveexec_b32 s18, s18
	s_cbranch_execz .LBB32_49
; %bb.48:                               ;   in Loop: Header=BB32_41 Depth=1
	ds_load_b128 v[38:41], v36 offset:4080
	s_wait_dscnt 0x0
	v_add_f64_e32 v[6:7], v[6:7], v[38:39]
	v_add_f64_e32 v[8:9], v[8:9], v[40:41]
.LBB32_49:                              ;   in Loop: Header=BB32_41 Depth=1
	s_or_b32 exec_lo, exec_lo, s18
.LBB32_50:                              ;   in Loop: Header=BB32_41 Depth=1
	s_delay_alu instid0(SALU_CYCLE_1)
	s_or_b32 exec_lo, exec_lo, s0
	s_wait_storecnt 0x0
	s_barrier_signal -1
	s_barrier_wait -1
	ds_store_b32 v18, v20
	ds_store_b128 v1, v[6:9]
	s_wait_dscnt 0x0
	s_barrier_signal -1
	s_barrier_wait -1
	s_and_saveexec_b32 s0, s3
	s_cbranch_execz .LBB32_54
; %bb.51:                               ;   in Loop: Header=BB32_41 Depth=1
	ds_load_b32 v37, v19
	s_mov_b32 s18, exec_lo
	s_wait_dscnt 0x0
	v_cmpx_eq_u32_e64 v20, v37
	s_cbranch_execz .LBB32_53
; %bb.52:                               ;   in Loop: Header=BB32_41 Depth=1
	ds_load_b128 v[38:41], v28
	s_wait_dscnt 0x0
	v_add_f64_e32 v[6:7], v[6:7], v[38:39]
	v_add_f64_e32 v[8:9], v[8:9], v[40:41]
.LBB32_53:                              ;   in Loop: Header=BB32_41 Depth=1
	s_or_b32 exec_lo, exec_lo, s18
.LBB32_54:                              ;   in Loop: Header=BB32_41 Depth=1
	s_delay_alu instid0(SALU_CYCLE_1)
	s_or_b32 exec_lo, exec_lo, s0
	s_barrier_signal -1
	s_barrier_wait -1
	ds_store_b128 v1, v[6:9]
	s_wait_dscnt 0x0
	s_barrier_signal -1
	s_barrier_wait -1
	s_and_saveexec_b32 s0, s4
	s_cbranch_execz .LBB32_58
; %bb.55:                               ;   in Loop: Header=BB32_41 Depth=1
	ds_load_b32 v37, v21
	s_mov_b32 s18, exec_lo
	s_wait_dscnt 0x0
	v_cmpx_eq_u32_e64 v20, v37
	s_cbranch_execz .LBB32_57
; %bb.56:                               ;   in Loop: Header=BB32_41 Depth=1
	ds_load_b128 v[38:41], v29
	s_wait_dscnt 0x0
	v_add_f64_e32 v[6:7], v[6:7], v[38:39]
	v_add_f64_e32 v[8:9], v[8:9], v[40:41]
.LBB32_57:                              ;   in Loop: Header=BB32_41 Depth=1
	s_or_b32 exec_lo, exec_lo, s18
.LBB32_58:                              ;   in Loop: Header=BB32_41 Depth=1
	s_delay_alu instid0(SALU_CYCLE_1)
	s_or_b32 exec_lo, exec_lo, s0
	s_barrier_signal -1
	s_barrier_wait -1
	ds_store_b128 v1, v[6:9]
	s_wait_dscnt 0x0
	s_barrier_signal -1
	s_barrier_wait -1
	s_and_saveexec_b32 s0, s5
	s_cbranch_execz .LBB32_62
; %bb.59:                               ;   in Loop: Header=BB32_41 Depth=1
	ds_load_b32 v37, v22
	s_mov_b32 s18, exec_lo
	s_wait_dscnt 0x0
	v_cmpx_eq_u32_e64 v20, v37
	s_cbranch_execz .LBB32_61
; %bb.60:                               ;   in Loop: Header=BB32_41 Depth=1
	ds_load_b128 v[38:41], v30
	s_wait_dscnt 0x0
	v_add_f64_e32 v[6:7], v[6:7], v[38:39]
	v_add_f64_e32 v[8:9], v[8:9], v[40:41]
.LBB32_61:                              ;   in Loop: Header=BB32_41 Depth=1
	s_or_b32 exec_lo, exec_lo, s18
.LBB32_62:                              ;   in Loop: Header=BB32_41 Depth=1
	s_delay_alu instid0(SALU_CYCLE_1)
	s_or_b32 exec_lo, exec_lo, s0
	s_barrier_signal -1
	s_barrier_wait -1
	ds_store_b128 v1, v[6:9]
	s_wait_dscnt 0x0
	s_barrier_signal -1
	s_barrier_wait -1
	s_and_saveexec_b32 s0, s6
	s_cbranch_execz .LBB32_66
; %bb.63:                               ;   in Loop: Header=BB32_41 Depth=1
	ds_load_b32 v37, v23
	s_mov_b32 s18, exec_lo
	s_wait_dscnt 0x0
	v_cmpx_eq_u32_e64 v20, v37
	s_cbranch_execz .LBB32_65
; %bb.64:                               ;   in Loop: Header=BB32_41 Depth=1
	ds_load_b128 v[38:41], v31
	s_wait_dscnt 0x0
	v_add_f64_e32 v[6:7], v[6:7], v[38:39]
	v_add_f64_e32 v[8:9], v[8:9], v[40:41]
.LBB32_65:                              ;   in Loop: Header=BB32_41 Depth=1
	s_or_b32 exec_lo, exec_lo, s18
.LBB32_66:                              ;   in Loop: Header=BB32_41 Depth=1
	s_delay_alu instid0(SALU_CYCLE_1)
	s_or_b32 exec_lo, exec_lo, s0
	s_barrier_signal -1
	s_barrier_wait -1
	ds_store_b128 v1, v[6:9]
	s_wait_dscnt 0x0
	s_barrier_signal -1
	s_barrier_wait -1
	s_and_saveexec_b32 s0, s7
	s_cbranch_execz .LBB32_70
; %bb.67:                               ;   in Loop: Header=BB32_41 Depth=1
	ds_load_b32 v37, v24
	s_mov_b32 s18, exec_lo
	s_wait_dscnt 0x0
	v_cmpx_eq_u32_e64 v20, v37
	s_cbranch_execz .LBB32_69
; %bb.68:                               ;   in Loop: Header=BB32_41 Depth=1
	ds_load_b128 v[38:41], v32
	s_wait_dscnt 0x0
	v_add_f64_e32 v[6:7], v[6:7], v[38:39]
	v_add_f64_e32 v[8:9], v[8:9], v[40:41]
.LBB32_69:                              ;   in Loop: Header=BB32_41 Depth=1
	s_or_b32 exec_lo, exec_lo, s18
.LBB32_70:                              ;   in Loop: Header=BB32_41 Depth=1
	s_delay_alu instid0(SALU_CYCLE_1)
	s_or_b32 exec_lo, exec_lo, s0
	s_barrier_signal -1
	s_barrier_wait -1
	ds_store_b128 v1, v[6:9]
	s_wait_dscnt 0x0
	s_barrier_signal -1
	s_barrier_wait -1
	s_and_saveexec_b32 s0, s8
	s_cbranch_execz .LBB32_74
; %bb.71:                               ;   in Loop: Header=BB32_41 Depth=1
	ds_load_b32 v37, v25
	s_mov_b32 s18, exec_lo
	s_wait_dscnt 0x0
	v_cmpx_eq_u32_e64 v20, v37
	s_cbranch_execz .LBB32_73
; %bb.72:                               ;   in Loop: Header=BB32_41 Depth=1
	ds_load_b128 v[38:41], v33
	s_wait_dscnt 0x0
	v_add_f64_e32 v[6:7], v[6:7], v[38:39]
	v_add_f64_e32 v[8:9], v[8:9], v[40:41]
.LBB32_73:                              ;   in Loop: Header=BB32_41 Depth=1
	s_or_b32 exec_lo, exec_lo, s18
.LBB32_74:                              ;   in Loop: Header=BB32_41 Depth=1
	s_delay_alu instid0(SALU_CYCLE_1)
	s_or_b32 exec_lo, exec_lo, s0
	s_barrier_signal -1
	s_barrier_wait -1
	ds_store_b128 v1, v[6:9]
	s_wait_dscnt 0x0
	s_barrier_signal -1
	s_barrier_wait -1
	s_and_saveexec_b32 s0, s9
	s_cbranch_execz .LBB32_78
; %bb.75:                               ;   in Loop: Header=BB32_41 Depth=1
	ds_load_b32 v37, v26
	s_mov_b32 s18, exec_lo
	s_wait_dscnt 0x0
	v_cmpx_eq_u32_e64 v20, v37
	s_cbranch_execz .LBB32_77
; %bb.76:                               ;   in Loop: Header=BB32_41 Depth=1
	ds_load_b128 v[38:41], v34
	s_wait_dscnt 0x0
	v_add_f64_e32 v[6:7], v[6:7], v[38:39]
	v_add_f64_e32 v[8:9], v[8:9], v[40:41]
.LBB32_77:                              ;   in Loop: Header=BB32_41 Depth=1
	s_or_b32 exec_lo, exec_lo, s18
.LBB32_78:                              ;   in Loop: Header=BB32_41 Depth=1
	s_delay_alu instid0(SALU_CYCLE_1)
	s_or_b32 exec_lo, exec_lo, s0
	s_barrier_signal -1
	s_barrier_wait -1
	ds_store_b128 v1, v[6:9]
	s_wait_dscnt 0x0
	s_barrier_signal -1
	s_barrier_wait -1
	s_and_saveexec_b32 s0, s10
	s_cbranch_execz .LBB32_82
; %bb.79:                               ;   in Loop: Header=BB32_41 Depth=1
	ds_load_b32 v37, v27
	s_mov_b32 s18, exec_lo
	s_wait_dscnt 0x0
	v_cmpx_eq_u32_e64 v20, v37
	s_cbranch_execz .LBB32_81
; %bb.80:                               ;   in Loop: Header=BB32_41 Depth=1
	ds_load_b128 v[38:41], v35
	s_wait_dscnt 0x0
	v_add_f64_e32 v[6:7], v[6:7], v[38:39]
	v_add_f64_e32 v[8:9], v[8:9], v[40:41]
.LBB32_81:                              ;   in Loop: Header=BB32_41 Depth=1
	s_or_b32 exec_lo, exec_lo, s18
.LBB32_82:                              ;   in Loop: Header=BB32_41 Depth=1
	s_delay_alu instid0(SALU_CYCLE_1)
	s_or_b32 exec_lo, exec_lo, s0
	s_barrier_signal -1
	s_barrier_wait -1
	ds_store_b128 v1, v[6:9]
	s_wait_dscnt 0x0
	s_barrier_signal -1
	s_barrier_wait -1
	s_and_saveexec_b32 s18, s11
	s_cbranch_execz .LBB32_40
; %bb.83:                               ;   in Loop: Header=BB32_41 Depth=1
	ds_load_b32 v37, v18 offset:4
	v_cmp_lt_i32_e64 s0, -1, v20
	s_wait_dscnt 0x0
	v_cmp_ne_u32_e32 vcc_lo, v20, v37
	s_and_b32 s0, s0, vcc_lo
	s_delay_alu instid0(SALU_CYCLE_1)
	s_and_b32 exec_lo, exec_lo, s0
	s_cbranch_execz .LBB32_40
; %bb.84:                               ;   in Loop: Header=BB32_41 Depth=1
	s_wait_kmcnt 0x0
	global_load_b128 v[38:41], v20, s[20:21] scale_offset
	s_wait_loadcnt 0x0
	v_fmac_f64_e32 v[38:39], v[2:3], v[6:7]
	v_fmac_f64_e32 v[40:41], v[4:5], v[6:7]
	s_delay_alu instid0(VALU_DEP_2) | instskip(NEXT) | instid1(VALU_DEP_2)
	v_fma_f64 v[38:39], -v[4:5], v[8:9], v[38:39]
	v_fmac_f64_e32 v[40:41], v[2:3], v[8:9]
	global_store_b128 v20, v[38:41], s[20:21] scale_offset
	s_branch .LBB32_40
.LBB32_85:
	v_cmp_eq_u32_e32 vcc_lo, 0xff, v0
	s_and_b32 exec_lo, exec_lo, vcc_lo
	s_cbranch_execz .LBB32_87
; %bb.86:
	v_dual_mul_f64 v[10:11], v[8:9], -v[4:5] :: v_dual_mov_b32 v0, s27
	v_mul_f64_e32 v[12:13], v[2:3], v[8:9]
	s_delay_alu instid0(VALU_DEP_2) | instskip(NEXT) | instid1(VALU_DEP_2)
	v_fmac_f64_e32 v[10:11], v[2:3], v[6:7]
	v_fmac_f64_e32 v[12:13], v[4:5], v[6:7]
	s_wait_kmcnt 0x0
	s_clause 0x1
	global_store_b32 v0, v20, s[12:13] scale_offset th:TH_STORE_NT
	global_store_b128 v0, v[10:13], s[14:15] scale_offset th:TH_STORE_NT
.LBB32_87:
	s_endpgm
	.section	.rodata,"a",@progbits
	.p2align	6, 0x0
	.amdhsa_kernel _ZN9rocsparseL22coomvn_segmented_loopsILj256Ei21rocsparse_complex_numIdES2_S2_S2_EEvlT0_NS_24const_host_device_scalarIT4_EEPKS3_S8_PKT1_PKT2_PT3_PS3_PS5_21rocsparse_index_base_b
		.amdhsa_group_segment_fixed_size 5120
		.amdhsa_private_segment_fixed_size 0
		.amdhsa_kernarg_size 96
		.amdhsa_user_sgpr_count 2
		.amdhsa_user_sgpr_dispatch_ptr 0
		.amdhsa_user_sgpr_queue_ptr 0
		.amdhsa_user_sgpr_kernarg_segment_ptr 1
		.amdhsa_user_sgpr_dispatch_id 0
		.amdhsa_user_sgpr_kernarg_preload_length 0
		.amdhsa_user_sgpr_kernarg_preload_offset 0
		.amdhsa_user_sgpr_private_segment_size 0
		.amdhsa_wavefront_size32 1
		.amdhsa_uses_dynamic_stack 0
		.amdhsa_enable_private_segment 0
		.amdhsa_system_sgpr_workgroup_id_x 1
		.amdhsa_system_sgpr_workgroup_id_y 0
		.amdhsa_system_sgpr_workgroup_id_z 0
		.amdhsa_system_sgpr_workgroup_info 0
		.amdhsa_system_vgpr_workitem_id 0
		.amdhsa_next_free_vgpr 46
		.amdhsa_next_free_sgpr 30
		.amdhsa_named_barrier_count 0
		.amdhsa_reserve_vcc 1
		.amdhsa_float_round_mode_32 0
		.amdhsa_float_round_mode_16_64 0
		.amdhsa_float_denorm_mode_32 3
		.amdhsa_float_denorm_mode_16_64 3
		.amdhsa_fp16_overflow 0
		.amdhsa_memory_ordered 1
		.amdhsa_forward_progress 1
		.amdhsa_inst_pref_size 24
		.amdhsa_round_robin_scheduling 0
		.amdhsa_exception_fp_ieee_invalid_op 0
		.amdhsa_exception_fp_denorm_src 0
		.amdhsa_exception_fp_ieee_div_zero 0
		.amdhsa_exception_fp_ieee_overflow 0
		.amdhsa_exception_fp_ieee_underflow 0
		.amdhsa_exception_fp_ieee_inexact 0
		.amdhsa_exception_int_div_zero 0
	.end_amdhsa_kernel
	.section	.text._ZN9rocsparseL22coomvn_segmented_loopsILj256Ei21rocsparse_complex_numIdES2_S2_S2_EEvlT0_NS_24const_host_device_scalarIT4_EEPKS3_S8_PKT1_PKT2_PT3_PS3_PS5_21rocsparse_index_base_b,"axG",@progbits,_ZN9rocsparseL22coomvn_segmented_loopsILj256Ei21rocsparse_complex_numIdES2_S2_S2_EEvlT0_NS_24const_host_device_scalarIT4_EEPKS3_S8_PKT1_PKT2_PT3_PS3_PS5_21rocsparse_index_base_b,comdat
.Lfunc_end32:
	.size	_ZN9rocsparseL22coomvn_segmented_loopsILj256Ei21rocsparse_complex_numIdES2_S2_S2_EEvlT0_NS_24const_host_device_scalarIT4_EEPKS3_S8_PKT1_PKT2_PT3_PS3_PS5_21rocsparse_index_base_b, .Lfunc_end32-_ZN9rocsparseL22coomvn_segmented_loopsILj256Ei21rocsparse_complex_numIdES2_S2_S2_EEvlT0_NS_24const_host_device_scalarIT4_EEPKS3_S8_PKT1_PKT2_PT3_PS3_PS5_21rocsparse_index_base_b
                                        ; -- End function
	.set _ZN9rocsparseL22coomvn_segmented_loopsILj256Ei21rocsparse_complex_numIdES2_S2_S2_EEvlT0_NS_24const_host_device_scalarIT4_EEPKS3_S8_PKT1_PKT2_PT3_PS3_PS5_21rocsparse_index_base_b.num_vgpr, 46
	.set _ZN9rocsparseL22coomvn_segmented_loopsILj256Ei21rocsparse_complex_numIdES2_S2_S2_EEvlT0_NS_24const_host_device_scalarIT4_EEPKS3_S8_PKT1_PKT2_PT3_PS3_PS5_21rocsparse_index_base_b.num_agpr, 0
	.set _ZN9rocsparseL22coomvn_segmented_loopsILj256Ei21rocsparse_complex_numIdES2_S2_S2_EEvlT0_NS_24const_host_device_scalarIT4_EEPKS3_S8_PKT1_PKT2_PT3_PS3_PS5_21rocsparse_index_base_b.numbered_sgpr, 30
	.set _ZN9rocsparseL22coomvn_segmented_loopsILj256Ei21rocsparse_complex_numIdES2_S2_S2_EEvlT0_NS_24const_host_device_scalarIT4_EEPKS3_S8_PKT1_PKT2_PT3_PS3_PS5_21rocsparse_index_base_b.num_named_barrier, 0
	.set _ZN9rocsparseL22coomvn_segmented_loopsILj256Ei21rocsparse_complex_numIdES2_S2_S2_EEvlT0_NS_24const_host_device_scalarIT4_EEPKS3_S8_PKT1_PKT2_PT3_PS3_PS5_21rocsparse_index_base_b.private_seg_size, 0
	.set _ZN9rocsparseL22coomvn_segmented_loopsILj256Ei21rocsparse_complex_numIdES2_S2_S2_EEvlT0_NS_24const_host_device_scalarIT4_EEPKS3_S8_PKT1_PKT2_PT3_PS3_PS5_21rocsparse_index_base_b.uses_vcc, 1
	.set _ZN9rocsparseL22coomvn_segmented_loopsILj256Ei21rocsparse_complex_numIdES2_S2_S2_EEvlT0_NS_24const_host_device_scalarIT4_EEPKS3_S8_PKT1_PKT2_PT3_PS3_PS5_21rocsparse_index_base_b.uses_flat_scratch, 0
	.set _ZN9rocsparseL22coomvn_segmented_loopsILj256Ei21rocsparse_complex_numIdES2_S2_S2_EEvlT0_NS_24const_host_device_scalarIT4_EEPKS3_S8_PKT1_PKT2_PT3_PS3_PS5_21rocsparse_index_base_b.has_dyn_sized_stack, 0
	.set _ZN9rocsparseL22coomvn_segmented_loopsILj256Ei21rocsparse_complex_numIdES2_S2_S2_EEvlT0_NS_24const_host_device_scalarIT4_EEPKS3_S8_PKT1_PKT2_PT3_PS3_PS5_21rocsparse_index_base_b.has_recursion, 0
	.set _ZN9rocsparseL22coomvn_segmented_loopsILj256Ei21rocsparse_complex_numIdES2_S2_S2_EEvlT0_NS_24const_host_device_scalarIT4_EEPKS3_S8_PKT1_PKT2_PT3_PS3_PS5_21rocsparse_index_base_b.has_indirect_call, 0
	.section	.AMDGPU.csdata,"",@progbits
; Kernel info:
; codeLenInByte = 2948
; TotalNumSgprs: 32
; NumVgprs: 46
; ScratchSize: 0
; MemoryBound: 1
; FloatMode: 240
; IeeeMode: 1
; LDSByteSize: 5120 bytes/workgroup (compile time only)
; SGPRBlocks: 0
; VGPRBlocks: 2
; NumSGPRsForWavesPerEU: 32
; NumVGPRsForWavesPerEU: 46
; NamedBarCnt: 0
; Occupancy: 16
; WaveLimiterHint : 1
; COMPUTE_PGM_RSRC2:SCRATCH_EN: 0
; COMPUTE_PGM_RSRC2:USER_SGPR: 2
; COMPUTE_PGM_RSRC2:TRAP_HANDLER: 0
; COMPUTE_PGM_RSRC2:TGID_X_EN: 1
; COMPUTE_PGM_RSRC2:TGID_Y_EN: 0
; COMPUTE_PGM_RSRC2:TGID_Z_EN: 0
; COMPUTE_PGM_RSRC2:TIDIG_COMP_CNT: 0
	.section	.text._ZN9rocsparseL29coomvn_segmented_loops_reduceILj256Ei21rocsparse_complex_numIdES2_EEvT0_NS_24const_host_device_scalarIT2_EEPKS3_PKS5_PT1_b,"axG",@progbits,_ZN9rocsparseL29coomvn_segmented_loops_reduceILj256Ei21rocsparse_complex_numIdES2_EEvT0_NS_24const_host_device_scalarIT2_EEPKS3_PKS5_PT1_b,comdat
	.globl	_ZN9rocsparseL29coomvn_segmented_loops_reduceILj256Ei21rocsparse_complex_numIdES2_EEvT0_NS_24const_host_device_scalarIT2_EEPKS3_PKS5_PT1_b ; -- Begin function _ZN9rocsparseL29coomvn_segmented_loops_reduceILj256Ei21rocsparse_complex_numIdES2_EEvT0_NS_24const_host_device_scalarIT2_EEPKS3_PKS5_PT1_b
	.p2align	8
	.type	_ZN9rocsparseL29coomvn_segmented_loops_reduceILj256Ei21rocsparse_complex_numIdES2_EEvT0_NS_24const_host_device_scalarIT2_EEPKS3_PKS5_PT1_b,@function
_ZN9rocsparseL29coomvn_segmented_loops_reduceILj256Ei21rocsparse_complex_numIdES2_EEvT0_NS_24const_host_device_scalarIT2_EEPKS3_PKS5_PT1_b: ; @_ZN9rocsparseL29coomvn_segmented_loops_reduceILj256Ei21rocsparse_complex_numIdES2_EEvT0_NS_24const_host_device_scalarIT2_EEPKS3_PKS5_PT1_b
; %bb.0:
	s_clause 0x1
	s_load_b32 s6, s[0:1], 0x30
	s_load_b64 s[2:3], s[0:1], 0x8
	v_mov_b32_e32 v1, 0
	s_add_nc_u64 s[4:5], s[0:1], 8
	s_wait_kmcnt 0x0
	s_bitcmp1_b32 s6, 0
	s_cselect_b32 s3, s5, s3
	s_cselect_b32 s2, s4, s2
	flat_load_b128 v[2:5], v1, s[2:3]
	s_wait_loadcnt_dscnt 0x0
	v_cmp_neq_f64_e32 vcc_lo, 0, v[2:3]
	v_cmp_neq_f64_e64 s2, 0, v[4:5]
	s_or_b32 s2, vcc_lo, s2
	s_delay_alu instid0(SALU_CYCLE_1)
	s_and_saveexec_b32 s3, s2
	s_cbranch_execz .LBB33_42
; %bb.1:
	s_load_b32 s8, s[0:1], 0x0
	s_wait_kmcnt 0x0
	s_cmp_lt_i32 s8, 1
	s_cbranch_scc1 .LBB33_42
; %bb.2:
	v_sub_co_u32 v2, s9, v0, 1
	s_clause 0x1
	s_load_b128 s[4:7], s[0:1], 0x18
	s_load_b64 s[2:3], s[0:1], 0x28
	s_wait_xcnt 0x0
	v_sub_co_u32 v3, s1, v0, 4
	v_lshl_add_u32 v11, v2, 2, 0x1000
	v_sub_co_u32 v2, s0, v0, 2
	s_xor_b32 s10, s0, -1
	s_xor_b32 s11, s1, -1
	v_lshl_add_u32 v15, v3, 2, 0x1000
	v_lshl_add_u32 v13, v2, 2, 0x1000
	v_sub_co_u32 v2, s0, v0, 8
	v_sub_co_u32 v3, s1, v0, 16
	s_xor_b32 s12, s0, -1
	v_lshl_add_u32 v17, v2, 2, 0x1000
	v_sub_co_u32 v2, s0, v0, 32
	v_lshlrev_b32_e32 v10, 4, v0
	s_xor_b32 s13, s1, -1
	v_lshl_add_u32 v19, v3, 2, 0x1000
	s_xor_b32 s14, s0, -1
	v_sub_co_u32 v3, s0, v0, 64
	v_subrev_co_u32 v4, s1, 0x80, v0
	v_lshl_or_b32 v1, v0, 2, 0x1000
	v_add_nc_u32_e32 v12, -16, v10
	v_subrev_nc_u32_e32 v14, 32, v10
	v_subrev_nc_u32_e32 v16, 64, v10
	v_add_nc_u32_e32 v18, 0xffffff80, v10
	v_add_nc_u32_e32 v20, 0xffffff00, v10
	v_lshl_add_u32 v21, v2, 2, 0x1000
	v_add_nc_u32_e32 v22, 0xfffffe00, v10
	v_lshl_add_u32 v23, v3, 2, 0x1000
	;; [unrolled: 2-line block ×3, first 2 shown]
	v_add_nc_u32_e32 v26, 0xfffff800, v10
	s_xor_b32 s9, s9, -1
	s_xor_b32 s15, s0, -1
	;; [unrolled: 1-line block ×3, first 2 shown]
	s_mov_b32 s17, 0
	v_cmp_gt_u32_e32 vcc_lo, 0xff, v0
	s_branch .LBB33_4
.LBB33_3:                               ;   in Loop: Header=BB33_4 Depth=1
	s_wait_xcnt 0x0
	s_or_b32 exec_lo, exec_lo, s0
	s_addk_co_i32 s17, 0x100
	s_wait_storecnt 0x0
	s_cmp_lt_i32 s17, s8
	s_barrier_signal -1
	s_barrier_wait -1
	s_cbranch_scc0 .LBB33_42
.LBB33_4:                               ; =>This Inner Loop Header: Depth=1
	v_mov_b64_e32 v[4:5], 0
	v_mov_b64_e32 v[8:9], 0
	;; [unrolled: 1-line block ×3, first 2 shown]
	v_dual_mov_b32 v27, -1 :: v_dual_add_nc_u32 v2, s17, v0
	s_mov_b32 s1, exec_lo
	s_delay_alu instid0(VALU_DEP_1)
	v_cmpx_gt_i32_e64 s8, v2
	s_cbranch_execz .LBB33_6
; %bb.5:                                ;   in Loop: Header=BB33_4 Depth=1
	s_wait_kmcnt 0x0
	s_clause 0x1
	global_load_b32 v27, v2, s[4:5] scale_offset
	global_load_b128 v[6:9], v2, s[6:7] scale_offset
.LBB33_6:                               ;   in Loop: Header=BB33_4 Depth=1
	s_wait_xcnt 0x0
	s_or_b32 exec_lo, exec_lo, s1
	v_mov_b64_e32 v[2:3], 0
	s_wait_loadcnt 0x1
	ds_store_b32 v1, v27
	s_wait_loadcnt 0x0
	ds_store_b128 v10, v[6:9]
	s_wait_dscnt 0x0
	s_barrier_signal -1
	s_barrier_wait -1
	s_and_saveexec_b32 s1, s9
	s_cbranch_execz .LBB33_10
; %bb.7:                                ;   in Loop: Header=BB33_4 Depth=1
	ds_load_2addr_b32 v[6:7], v11 offset1:1
	v_mov_b64_e32 v[2:3], 0
	v_mov_b64_e32 v[4:5], 0
	s_mov_b32 s18, exec_lo
	s_wait_dscnt 0x0
	v_cmpx_eq_u32_e64 v7, v6
; %bb.8:                                ;   in Loop: Header=BB33_4 Depth=1
	ds_load_b128 v[2:5], v12
; %bb.9:                                ;   in Loop: Header=BB33_4 Depth=1
	s_or_b32 exec_lo, exec_lo, s18
.LBB33_10:                              ;   in Loop: Header=BB33_4 Depth=1
	s_delay_alu instid0(SALU_CYCLE_1)
	s_or_b32 exec_lo, exec_lo, s1
	s_wait_dscnt 0x0
	s_barrier_signal -1
	s_barrier_wait -1
	ds_load_b128 v[6:9], v10
	s_wait_dscnt 0x0
	v_add_f64_e32 v[28:29], v[2:3], v[6:7]
	v_add_f64_e32 v[30:31], v[4:5], v[8:9]
	v_mov_b64_e32 v[4:5], 0
	v_mov_b64_e32 v[8:9], 0
	v_mov_b64_e32 v[6:7], 0
	ds_store_b128 v10, v[28:31]
	s_wait_dscnt 0x0
	s_barrier_signal -1
	s_barrier_wait -1
	s_and_saveexec_b32 s1, s10
	s_cbranch_execz .LBB33_14
; %bb.11:                               ;   in Loop: Header=BB33_4 Depth=1
	ds_load_b32 v2, v1
	ds_load_b32 v3, v13
	v_mov_b64_e32 v[6:7], 0
	v_mov_b64_e32 v[8:9], 0
	s_mov_b32 s18, exec_lo
	s_wait_dscnt 0x0
	v_cmpx_eq_u32_e64 v2, v3
; %bb.12:                               ;   in Loop: Header=BB33_4 Depth=1
	ds_load_b128 v[6:9], v14
; %bb.13:                               ;   in Loop: Header=BB33_4 Depth=1
	s_or_b32 exec_lo, exec_lo, s18
.LBB33_14:                              ;   in Loop: Header=BB33_4 Depth=1
	s_delay_alu instid0(SALU_CYCLE_1)
	s_or_b32 exec_lo, exec_lo, s1
	s_wait_dscnt 0x0
	s_barrier_signal -1
	s_barrier_wait -1
	ds_load_b128 v[28:31], v10
	v_mov_b64_e32 v[2:3], 0
	s_wait_dscnt 0x0
	v_add_f64_e32 v[6:7], v[6:7], v[28:29]
	v_add_f64_e32 v[8:9], v[8:9], v[30:31]
	ds_store_b128 v10, v[6:9]
	s_wait_dscnt 0x0
	s_barrier_signal -1
	s_barrier_wait -1
	s_and_saveexec_b32 s1, s11
	s_cbranch_execz .LBB33_18
; %bb.15:                               ;   in Loop: Header=BB33_4 Depth=1
	ds_load_b32 v6, v1
	ds_load_b32 v7, v15
	v_mov_b64_e32 v[2:3], 0
	v_mov_b64_e32 v[4:5], 0
	s_mov_b32 s18, exec_lo
	s_wait_dscnt 0x0
	v_cmpx_eq_u32_e64 v6, v7
; %bb.16:                               ;   in Loop: Header=BB33_4 Depth=1
	ds_load_b128 v[2:5], v16
; %bb.17:                               ;   in Loop: Header=BB33_4 Depth=1
	s_or_b32 exec_lo, exec_lo, s18
.LBB33_18:                              ;   in Loop: Header=BB33_4 Depth=1
	s_delay_alu instid0(SALU_CYCLE_1)
	s_or_b32 exec_lo, exec_lo, s1
	s_wait_dscnt 0x0
	s_barrier_signal -1
	s_barrier_wait -1
	ds_load_b128 v[6:9], v10
	s_wait_dscnt 0x0
	v_add_f64_e32 v[28:29], v[2:3], v[6:7]
	v_add_f64_e32 v[30:31], v[4:5], v[8:9]
	v_mov_b64_e32 v[4:5], 0
	v_mov_b64_e32 v[8:9], 0
	v_mov_b64_e32 v[6:7], 0
	ds_store_b128 v10, v[28:31]
	s_wait_dscnt 0x0
	s_barrier_signal -1
	s_barrier_wait -1
	s_and_saveexec_b32 s1, s12
	s_cbranch_execz .LBB33_22
; %bb.19:                               ;   in Loop: Header=BB33_4 Depth=1
	ds_load_b32 v2, v1
	ds_load_b32 v3, v17
	v_mov_b64_e32 v[6:7], 0
	v_mov_b64_e32 v[8:9], 0
	s_mov_b32 s18, exec_lo
	s_wait_dscnt 0x0
	v_cmpx_eq_u32_e64 v2, v3
; %bb.20:                               ;   in Loop: Header=BB33_4 Depth=1
	ds_load_b128 v[6:9], v18
; %bb.21:                               ;   in Loop: Header=BB33_4 Depth=1
	s_or_b32 exec_lo, exec_lo, s18
.LBB33_22:                              ;   in Loop: Header=BB33_4 Depth=1
	s_delay_alu instid0(SALU_CYCLE_1)
	s_or_b32 exec_lo, exec_lo, s1
	s_wait_dscnt 0x0
	s_barrier_signal -1
	s_barrier_wait -1
	ds_load_b128 v[28:31], v10
	v_mov_b64_e32 v[2:3], 0
	s_wait_dscnt 0x0
	v_add_f64_e32 v[6:7], v[6:7], v[28:29]
	v_add_f64_e32 v[8:9], v[8:9], v[30:31]
	ds_store_b128 v10, v[6:9]
	s_wait_dscnt 0x0
	s_barrier_signal -1
	s_barrier_wait -1
	s_and_saveexec_b32 s1, s13
	s_cbranch_execz .LBB33_26
; %bb.23:                               ;   in Loop: Header=BB33_4 Depth=1
	ds_load_b32 v6, v1
	ds_load_b32 v7, v19
	v_mov_b64_e32 v[2:3], 0
	v_mov_b64_e32 v[4:5], 0
	s_mov_b32 s18, exec_lo
	s_wait_dscnt 0x0
	v_cmpx_eq_u32_e64 v6, v7
; %bb.24:                               ;   in Loop: Header=BB33_4 Depth=1
	ds_load_b128 v[2:5], v20
; %bb.25:                               ;   in Loop: Header=BB33_4 Depth=1
	s_or_b32 exec_lo, exec_lo, s18
.LBB33_26:                              ;   in Loop: Header=BB33_4 Depth=1
	;; [unrolled: 60-line block ×3, first 2 shown]
	s_delay_alu instid0(SALU_CYCLE_1)
	s_or_b32 exec_lo, exec_lo, s1
	s_wait_dscnt 0x0
	s_barrier_signal -1
	s_barrier_wait -1
	ds_load_b128 v[6:9], v10
	s_wait_dscnt 0x0
	v_add_f64_e32 v[6:7], v[2:3], v[6:7]
	v_add_f64_e32 v[8:9], v[4:5], v[8:9]
	v_mov_b64_e32 v[4:5], 0
	v_mov_b64_e32 v[2:3], 0
	ds_store_b128 v10, v[6:9]
	s_wait_dscnt 0x0
	s_barrier_signal -1
	s_barrier_wait -1
	s_and_saveexec_b32 s1, s16
	s_cbranch_execz .LBB33_38
; %bb.35:                               ;   in Loop: Header=BB33_4 Depth=1
	ds_load_b32 v6, v1
	ds_load_b32 v7, v25
	v_mov_b64_e32 v[2:3], 0
	v_mov_b64_e32 v[4:5], 0
	s_mov_b32 s18, exec_lo
	s_wait_dscnt 0x0
	v_cmpx_eq_u32_e64 v6, v7
; %bb.36:                               ;   in Loop: Header=BB33_4 Depth=1
	ds_load_b128 v[2:5], v26
; %bb.37:                               ;   in Loop: Header=BB33_4 Depth=1
	s_or_b32 exec_lo, exec_lo, s18
.LBB33_38:                              ;   in Loop: Header=BB33_4 Depth=1
	s_delay_alu instid0(SALU_CYCLE_1)
	s_or_b32 exec_lo, exec_lo, s1
	s_wait_dscnt 0x0
	s_barrier_signal -1
	s_barrier_wait -1
	ds_load_b128 v[6:9], v10
	s_wait_dscnt 0x0
	v_add_f64_e32 v[2:3], v[2:3], v[6:7]
	v_add_f64_e32 v[4:5], v[4:5], v[8:9]
	ds_store_b128 v10, v[2:5]
	s_wait_dscnt 0x0
	s_barrier_signal -1
	s_barrier_wait -1
	ds_load_b32 v2, v1
	v_mov_b32_e32 v3, -1
	s_and_saveexec_b32 s0, vcc_lo
; %bb.39:                               ;   in Loop: Header=BB33_4 Depth=1
	ds_load_b32 v3, v1 offset:4
; %bb.40:                               ;   in Loop: Header=BB33_4 Depth=1
	s_or_b32 exec_lo, exec_lo, s0
	s_wait_dscnt 0x0
	v_cmp_ne_u32_e64 s0, v2, v3
	v_cmp_lt_i32_e64 s1, -1, v2
	s_and_b32 s1, s1, s0
	s_delay_alu instid0(SALU_CYCLE_1)
	s_and_saveexec_b32 s0, s1
	s_cbranch_execz .LBB33_3
; %bb.41:                               ;   in Loop: Header=BB33_4 Depth=1
	s_wait_kmcnt 0x0
	global_load_b128 v[4:7], v2, s[2:3] scale_offset
	ds_load_b128 v[28:31], v10
	s_wait_loadcnt_dscnt 0x0
	v_add_f64_e32 v[4:5], v[28:29], v[4:5]
	v_add_f64_e32 v[6:7], v[30:31], v[6:7]
	global_store_b128 v2, v[4:7], s[2:3] scale_offset
	s_branch .LBB33_3
.LBB33_42:
	s_endpgm
	.section	.rodata,"a",@progbits
	.p2align	6, 0x0
	.amdhsa_kernel _ZN9rocsparseL29coomvn_segmented_loops_reduceILj256Ei21rocsparse_complex_numIdES2_EEvT0_NS_24const_host_device_scalarIT2_EEPKS3_PKS5_PT1_b
		.amdhsa_group_segment_fixed_size 5120
		.amdhsa_private_segment_fixed_size 0
		.amdhsa_kernarg_size 52
		.amdhsa_user_sgpr_count 2
		.amdhsa_user_sgpr_dispatch_ptr 0
		.amdhsa_user_sgpr_queue_ptr 0
		.amdhsa_user_sgpr_kernarg_segment_ptr 1
		.amdhsa_user_sgpr_dispatch_id 0
		.amdhsa_user_sgpr_kernarg_preload_length 0
		.amdhsa_user_sgpr_kernarg_preload_offset 0
		.amdhsa_user_sgpr_private_segment_size 0
		.amdhsa_wavefront_size32 1
		.amdhsa_uses_dynamic_stack 0
		.amdhsa_enable_private_segment 0
		.amdhsa_system_sgpr_workgroup_id_x 1
		.amdhsa_system_sgpr_workgroup_id_y 0
		.amdhsa_system_sgpr_workgroup_id_z 0
		.amdhsa_system_sgpr_workgroup_info 0
		.amdhsa_system_vgpr_workitem_id 0
		.amdhsa_next_free_vgpr 32
		.amdhsa_next_free_sgpr 19
		.amdhsa_named_barrier_count 0
		.amdhsa_reserve_vcc 1
		.amdhsa_float_round_mode_32 0
		.amdhsa_float_round_mode_16_64 0
		.amdhsa_float_denorm_mode_32 3
		.amdhsa_float_denorm_mode_16_64 3
		.amdhsa_fp16_overflow 0
		.amdhsa_memory_ordered 1
		.amdhsa_forward_progress 1
		.amdhsa_inst_pref_size 14
		.amdhsa_round_robin_scheduling 0
		.amdhsa_exception_fp_ieee_invalid_op 0
		.amdhsa_exception_fp_denorm_src 0
		.amdhsa_exception_fp_ieee_div_zero 0
		.amdhsa_exception_fp_ieee_overflow 0
		.amdhsa_exception_fp_ieee_underflow 0
		.amdhsa_exception_fp_ieee_inexact 0
		.amdhsa_exception_int_div_zero 0
	.end_amdhsa_kernel
	.section	.text._ZN9rocsparseL29coomvn_segmented_loops_reduceILj256Ei21rocsparse_complex_numIdES2_EEvT0_NS_24const_host_device_scalarIT2_EEPKS3_PKS5_PT1_b,"axG",@progbits,_ZN9rocsparseL29coomvn_segmented_loops_reduceILj256Ei21rocsparse_complex_numIdES2_EEvT0_NS_24const_host_device_scalarIT2_EEPKS3_PKS5_PT1_b,comdat
.Lfunc_end33:
	.size	_ZN9rocsparseL29coomvn_segmented_loops_reduceILj256Ei21rocsparse_complex_numIdES2_EEvT0_NS_24const_host_device_scalarIT2_EEPKS3_PKS5_PT1_b, .Lfunc_end33-_ZN9rocsparseL29coomvn_segmented_loops_reduceILj256Ei21rocsparse_complex_numIdES2_EEvT0_NS_24const_host_device_scalarIT2_EEPKS3_PKS5_PT1_b
                                        ; -- End function
	.set _ZN9rocsparseL29coomvn_segmented_loops_reduceILj256Ei21rocsparse_complex_numIdES2_EEvT0_NS_24const_host_device_scalarIT2_EEPKS3_PKS5_PT1_b.num_vgpr, 32
	.set _ZN9rocsparseL29coomvn_segmented_loops_reduceILj256Ei21rocsparse_complex_numIdES2_EEvT0_NS_24const_host_device_scalarIT2_EEPKS3_PKS5_PT1_b.num_agpr, 0
	.set _ZN9rocsparseL29coomvn_segmented_loops_reduceILj256Ei21rocsparse_complex_numIdES2_EEvT0_NS_24const_host_device_scalarIT2_EEPKS3_PKS5_PT1_b.numbered_sgpr, 19
	.set _ZN9rocsparseL29coomvn_segmented_loops_reduceILj256Ei21rocsparse_complex_numIdES2_EEvT0_NS_24const_host_device_scalarIT2_EEPKS3_PKS5_PT1_b.num_named_barrier, 0
	.set _ZN9rocsparseL29coomvn_segmented_loops_reduceILj256Ei21rocsparse_complex_numIdES2_EEvT0_NS_24const_host_device_scalarIT2_EEPKS3_PKS5_PT1_b.private_seg_size, 0
	.set _ZN9rocsparseL29coomvn_segmented_loops_reduceILj256Ei21rocsparse_complex_numIdES2_EEvT0_NS_24const_host_device_scalarIT2_EEPKS3_PKS5_PT1_b.uses_vcc, 1
	.set _ZN9rocsparseL29coomvn_segmented_loops_reduceILj256Ei21rocsparse_complex_numIdES2_EEvT0_NS_24const_host_device_scalarIT2_EEPKS3_PKS5_PT1_b.uses_flat_scratch, 0
	.set _ZN9rocsparseL29coomvn_segmented_loops_reduceILj256Ei21rocsparse_complex_numIdES2_EEvT0_NS_24const_host_device_scalarIT2_EEPKS3_PKS5_PT1_b.has_dyn_sized_stack, 0
	.set _ZN9rocsparseL29coomvn_segmented_loops_reduceILj256Ei21rocsparse_complex_numIdES2_EEvT0_NS_24const_host_device_scalarIT2_EEPKS3_PKS5_PT1_b.has_recursion, 0
	.set _ZN9rocsparseL29coomvn_segmented_loops_reduceILj256Ei21rocsparse_complex_numIdES2_EEvT0_NS_24const_host_device_scalarIT2_EEPKS3_PKS5_PT1_b.has_indirect_call, 0
	.section	.AMDGPU.csdata,"",@progbits
; Kernel info:
; codeLenInByte = 1692
; TotalNumSgprs: 21
; NumVgprs: 32
; ScratchSize: 0
; MemoryBound: 0
; FloatMode: 240
; IeeeMode: 1
; LDSByteSize: 5120 bytes/workgroup (compile time only)
; SGPRBlocks: 0
; VGPRBlocks: 1
; NumSGPRsForWavesPerEU: 21
; NumVGPRsForWavesPerEU: 32
; NamedBarCnt: 0
; Occupancy: 16
; WaveLimiterHint : 0
; COMPUTE_PGM_RSRC2:SCRATCH_EN: 0
; COMPUTE_PGM_RSRC2:USER_SGPR: 2
; COMPUTE_PGM_RSRC2:TRAP_HANDLER: 0
; COMPUTE_PGM_RSRC2:TGID_X_EN: 1
; COMPUTE_PGM_RSRC2:TGID_Y_EN: 0
; COMPUTE_PGM_RSRC2:TGID_Z_EN: 0
; COMPUTE_PGM_RSRC2:TIDIG_COMP_CNT: 0
	.section	.text._ZN9rocsparseL13coomvt_kernelILj1024Ei21rocsparse_complex_numIdES2_S2_S2_EEv20rocsparse_operation_lNS_24const_host_device_scalarIT4_EEPKT0_S9_PKT1_PKT2_PT3_21rocsparse_index_base_b,"axG",@progbits,_ZN9rocsparseL13coomvt_kernelILj1024Ei21rocsparse_complex_numIdES2_S2_S2_EEv20rocsparse_operation_lNS_24const_host_device_scalarIT4_EEPKT0_S9_PKT1_PKT2_PT3_21rocsparse_index_base_b,comdat
	.globl	_ZN9rocsparseL13coomvt_kernelILj1024Ei21rocsparse_complex_numIdES2_S2_S2_EEv20rocsparse_operation_lNS_24const_host_device_scalarIT4_EEPKT0_S9_PKT1_PKT2_PT3_21rocsparse_index_base_b ; -- Begin function _ZN9rocsparseL13coomvt_kernelILj1024Ei21rocsparse_complex_numIdES2_S2_S2_EEv20rocsparse_operation_lNS_24const_host_device_scalarIT4_EEPKT0_S9_PKT1_PKT2_PT3_21rocsparse_index_base_b
	.p2align	8
	.type	_ZN9rocsparseL13coomvt_kernelILj1024Ei21rocsparse_complex_numIdES2_S2_S2_EEv20rocsparse_operation_lNS_24const_host_device_scalarIT4_EEPKT0_S9_PKT1_PKT2_PT3_21rocsparse_index_base_b,@function
_ZN9rocsparseL13coomvt_kernelILj1024Ei21rocsparse_complex_numIdES2_S2_S2_EEv20rocsparse_operation_lNS_24const_host_device_scalarIT4_EEPKT0_S9_PKT1_PKT2_PT3_21rocsparse_index_base_b: ; @_ZN9rocsparseL13coomvt_kernelILj1024Ei21rocsparse_complex_numIdES2_S2_S2_EEv20rocsparse_operation_lNS_24const_host_device_scalarIT4_EEPKT0_S9_PKT1_PKT2_PT3_21rocsparse_index_base_b
; %bb.0:
	s_clause 0x1
	s_load_b64 s[8:9], s[0:1], 0x48
	s_load_b128 s[4:7], s[0:1], 0x8
	v_mov_b32_e32 v1, 0
	s_add_nc_u64 s[2:3], s[0:1], 16
	s_wait_kmcnt 0x0
	s_bitcmp1_b32 s9, 0
	s_cselect_b32 s3, s3, s7
	s_cselect_b32 s2, s2, s6
	flat_load_b128 v[2:5], v1, s[2:3]
	s_wait_loadcnt_dscnt 0x0
	v_cmp_neq_f64_e32 vcc_lo, 0, v[2:3]
	v_cmp_neq_f64_e64 s2, 0, v[4:5]
	s_or_b32 s2, vcc_lo, s2
	s_delay_alu instid0(SALU_CYCLE_1)
	s_and_saveexec_b32 s3, s2
	s_cbranch_execz .LBB34_3
; %bb.1:
	s_load_b32 s2, s[0:1], 0x5c
	s_bfe_u32 s3, ttmp6, 0x4000c
	s_and_b32 s6, ttmp6, 15
	s_add_co_i32 s3, s3, 1
	s_getreg_b32 s7, hwreg(HW_REG_IB_STS2, 6, 4)
	s_mul_i32 s3, ttmp9, s3
	s_delay_alu instid0(SALU_CYCLE_1) | instskip(SKIP_4) | instid1(SALU_CYCLE_1)
	s_add_co_i32 s6, s6, s3
	s_wait_kmcnt 0x0
	s_and_b32 s2, s2, 0xffff
	s_cmp_eq_u32 s7, 0
	s_cselect_b32 s3, ttmp9, s6
	v_mad_u32 v0, s3, s2, v0
	s_delay_alu instid0(VALU_DEP_1)
	v_cmp_gt_i64_e32 vcc_lo, s[4:5], v[0:1]
	s_and_b32 exec_lo, exec_lo, vcc_lo
	s_cbranch_execz .LBB34_3
; %bb.2:
	s_load_b256 s[12:19], s[0:1], 0x20
	v_lshlrev_b64_e32 v[14:15], 2, v[0:1]
	s_load_b32 s2, s[0:1], 0x0
	s_wait_kmcnt 0x0
	s_delay_alu instid0(VALU_DEP_1)
	v_add_nc_u64_e32 v[6:7], s[12:13], v[14:15]
	v_lshl_add_u64 v[0:1], v[0:1], 4, s[16:17]
	s_cmp_eq_u32 s2, 0x71
	s_load_b64 s[0:1], s[0:1], 0x40
	s_cselect_b32 vcc_lo, -1, 0
	global_load_b32 v10, v[6:7], off
	global_load_b128 v[6:9], v[0:1], off
	s_wait_loadcnt 0x1
	s_wait_xcnt 0x0
	v_subrev_nc_u32_e32 v0, s8, v10
	global_load_b128 v[10:13], v0, s[18:19] scale_offset
	s_wait_xcnt 0x0
	v_add_nc_u64_e32 v[0:1], s[14:15], v[14:15]
	global_load_b32 v14, v[0:1], off
	s_wait_loadcnt 0x2
	s_wait_xcnt 0x0
	v_xor_b32_e32 v0, 0x80000000, v9
	s_delay_alu instid0(VALU_DEP_1) | instskip(NEXT) | instid1(VALU_DEP_1)
	v_cndmask_b32_e32 v9, v9, v0, vcc_lo
	v_mul_f64_e32 v[0:1], v[2:3], v[8:9]
	v_mul_f64_e64 v[8:9], v[8:9], -v[4:5]
	s_delay_alu instid0(VALU_DEP_2) | instskip(NEXT) | instid1(VALU_DEP_2)
	v_fmac_f64_e32 v[0:1], v[4:5], v[6:7]
	v_fmac_f64_e32 v[8:9], v[2:3], v[6:7]
	s_wait_loadcnt 0x1
	s_delay_alu instid0(VALU_DEP_2) | instskip(NEXT) | instid1(VALU_DEP_2)
	v_mul_f64_e64 v[2:3], v[12:13], -v[0:1]
	v_mul_f64_e32 v[4:5], v[8:9], v[12:13]
	s_delay_alu instid0(VALU_DEP_2) | instskip(NEXT) | instid1(VALU_DEP_2)
	v_fmac_f64_e32 v[2:3], v[8:9], v[10:11]
	v_fmac_f64_e32 v[4:5], v[0:1], v[10:11]
	s_wait_loadcnt 0x0
	v_subrev_nc_u32_e32 v0, s8, v14
	s_delay_alu instid0(VALU_DEP_1) | instskip(SKIP_1) | instid1(VALU_DEP_1)
	v_ashrrev_i32_e32 v1, 31, v0
	s_wait_kmcnt 0x0
	v_lshl_add_u64 v[0:1], v[0:1], 4, s[0:1]
	global_atomic_add_f64 v[0:1], v[2:3], off scope:SCOPE_DEV
	s_wait_xcnt 0x0
	global_atomic_add_f64 v[0:1], v[4:5], off offset:8 scope:SCOPE_DEV
.LBB34_3:
	s_endpgm
	.section	.rodata,"a",@progbits
	.p2align	6, 0x0
	.amdhsa_kernel _ZN9rocsparseL13coomvt_kernelILj1024Ei21rocsparse_complex_numIdES2_S2_S2_EEv20rocsparse_operation_lNS_24const_host_device_scalarIT4_EEPKT0_S9_PKT1_PKT2_PT3_21rocsparse_index_base_b
		.amdhsa_group_segment_fixed_size 0
		.amdhsa_private_segment_fixed_size 0
		.amdhsa_kernarg_size 336
		.amdhsa_user_sgpr_count 2
		.amdhsa_user_sgpr_dispatch_ptr 0
		.amdhsa_user_sgpr_queue_ptr 0
		.amdhsa_user_sgpr_kernarg_segment_ptr 1
		.amdhsa_user_sgpr_dispatch_id 0
		.amdhsa_user_sgpr_kernarg_preload_length 0
		.amdhsa_user_sgpr_kernarg_preload_offset 0
		.amdhsa_user_sgpr_private_segment_size 0
		.amdhsa_wavefront_size32 1
		.amdhsa_uses_dynamic_stack 0
		.amdhsa_enable_private_segment 0
		.amdhsa_system_sgpr_workgroup_id_x 1
		.amdhsa_system_sgpr_workgroup_id_y 0
		.amdhsa_system_sgpr_workgroup_id_z 0
		.amdhsa_system_sgpr_workgroup_info 0
		.amdhsa_system_vgpr_workitem_id 0
		.amdhsa_next_free_vgpr 16
		.amdhsa_next_free_sgpr 20
		.amdhsa_named_barrier_count 0
		.amdhsa_reserve_vcc 1
		.amdhsa_float_round_mode_32 0
		.amdhsa_float_round_mode_16_64 0
		.amdhsa_float_denorm_mode_32 3
		.amdhsa_float_denorm_mode_16_64 3
		.amdhsa_fp16_overflow 0
		.amdhsa_memory_ordered 1
		.amdhsa_forward_progress 1
		.amdhsa_inst_pref_size 4
		.amdhsa_round_robin_scheduling 0
		.amdhsa_exception_fp_ieee_invalid_op 0
		.amdhsa_exception_fp_denorm_src 0
		.amdhsa_exception_fp_ieee_div_zero 0
		.amdhsa_exception_fp_ieee_overflow 0
		.amdhsa_exception_fp_ieee_underflow 0
		.amdhsa_exception_fp_ieee_inexact 0
		.amdhsa_exception_int_div_zero 0
	.end_amdhsa_kernel
	.section	.text._ZN9rocsparseL13coomvt_kernelILj1024Ei21rocsparse_complex_numIdES2_S2_S2_EEv20rocsparse_operation_lNS_24const_host_device_scalarIT4_EEPKT0_S9_PKT1_PKT2_PT3_21rocsparse_index_base_b,"axG",@progbits,_ZN9rocsparseL13coomvt_kernelILj1024Ei21rocsparse_complex_numIdES2_S2_S2_EEv20rocsparse_operation_lNS_24const_host_device_scalarIT4_EEPKT0_S9_PKT1_PKT2_PT3_21rocsparse_index_base_b,comdat
.Lfunc_end34:
	.size	_ZN9rocsparseL13coomvt_kernelILj1024Ei21rocsparse_complex_numIdES2_S2_S2_EEv20rocsparse_operation_lNS_24const_host_device_scalarIT4_EEPKT0_S9_PKT1_PKT2_PT3_21rocsparse_index_base_b, .Lfunc_end34-_ZN9rocsparseL13coomvt_kernelILj1024Ei21rocsparse_complex_numIdES2_S2_S2_EEv20rocsparse_operation_lNS_24const_host_device_scalarIT4_EEPKT0_S9_PKT1_PKT2_PT3_21rocsparse_index_base_b
                                        ; -- End function
	.set _ZN9rocsparseL13coomvt_kernelILj1024Ei21rocsparse_complex_numIdES2_S2_S2_EEv20rocsparse_operation_lNS_24const_host_device_scalarIT4_EEPKT0_S9_PKT1_PKT2_PT3_21rocsparse_index_base_b.num_vgpr, 16
	.set _ZN9rocsparseL13coomvt_kernelILj1024Ei21rocsparse_complex_numIdES2_S2_S2_EEv20rocsparse_operation_lNS_24const_host_device_scalarIT4_EEPKT0_S9_PKT1_PKT2_PT3_21rocsparse_index_base_b.num_agpr, 0
	.set _ZN9rocsparseL13coomvt_kernelILj1024Ei21rocsparse_complex_numIdES2_S2_S2_EEv20rocsparse_operation_lNS_24const_host_device_scalarIT4_EEPKT0_S9_PKT1_PKT2_PT3_21rocsparse_index_base_b.numbered_sgpr, 20
	.set _ZN9rocsparseL13coomvt_kernelILj1024Ei21rocsparse_complex_numIdES2_S2_S2_EEv20rocsparse_operation_lNS_24const_host_device_scalarIT4_EEPKT0_S9_PKT1_PKT2_PT3_21rocsparse_index_base_b.num_named_barrier, 0
	.set _ZN9rocsparseL13coomvt_kernelILj1024Ei21rocsparse_complex_numIdES2_S2_S2_EEv20rocsparse_operation_lNS_24const_host_device_scalarIT4_EEPKT0_S9_PKT1_PKT2_PT3_21rocsparse_index_base_b.private_seg_size, 0
	.set _ZN9rocsparseL13coomvt_kernelILj1024Ei21rocsparse_complex_numIdES2_S2_S2_EEv20rocsparse_operation_lNS_24const_host_device_scalarIT4_EEPKT0_S9_PKT1_PKT2_PT3_21rocsparse_index_base_b.uses_vcc, 1
	.set _ZN9rocsparseL13coomvt_kernelILj1024Ei21rocsparse_complex_numIdES2_S2_S2_EEv20rocsparse_operation_lNS_24const_host_device_scalarIT4_EEPKT0_S9_PKT1_PKT2_PT3_21rocsparse_index_base_b.uses_flat_scratch, 0
	.set _ZN9rocsparseL13coomvt_kernelILj1024Ei21rocsparse_complex_numIdES2_S2_S2_EEv20rocsparse_operation_lNS_24const_host_device_scalarIT4_EEPKT0_S9_PKT1_PKT2_PT3_21rocsparse_index_base_b.has_dyn_sized_stack, 0
	.set _ZN9rocsparseL13coomvt_kernelILj1024Ei21rocsparse_complex_numIdES2_S2_S2_EEv20rocsparse_operation_lNS_24const_host_device_scalarIT4_EEPKT0_S9_PKT1_PKT2_PT3_21rocsparse_index_base_b.has_recursion, 0
	.set _ZN9rocsparseL13coomvt_kernelILj1024Ei21rocsparse_complex_numIdES2_S2_S2_EEv20rocsparse_operation_lNS_24const_host_device_scalarIT4_EEPKT0_S9_PKT1_PKT2_PT3_21rocsparse_index_base_b.has_indirect_call, 0
	.section	.AMDGPU.csdata,"",@progbits
; Kernel info:
; codeLenInByte = 440
; TotalNumSgprs: 22
; NumVgprs: 16
; ScratchSize: 0
; MemoryBound: 0
; FloatMode: 240
; IeeeMode: 1
; LDSByteSize: 0 bytes/workgroup (compile time only)
; SGPRBlocks: 0
; VGPRBlocks: 0
; NumSGPRsForWavesPerEU: 22
; NumVGPRsForWavesPerEU: 16
; NamedBarCnt: 0
; Occupancy: 16
; WaveLimiterHint : 1
; COMPUTE_PGM_RSRC2:SCRATCH_EN: 0
; COMPUTE_PGM_RSRC2:USER_SGPR: 2
; COMPUTE_PGM_RSRC2:TRAP_HANDLER: 0
; COMPUTE_PGM_RSRC2:TGID_X_EN: 1
; COMPUTE_PGM_RSRC2:TGID_Y_EN: 0
; COMPUTE_PGM_RSRC2:TGID_Z_EN: 0
; COMPUTE_PGM_RSRC2:TIDIG_COMP_CNT: 0
	.section	.text._ZN9rocsparseL19coomvn_atomic_loopsILj256ELj1Ei21rocsparse_complex_numIdES2_S2_S2_EEvlNS_24const_host_device_scalarIT5_EEPKT1_S8_PKT2_PKT3_PT4_21rocsparse_index_base_b,"axG",@progbits,_ZN9rocsparseL19coomvn_atomic_loopsILj256ELj1Ei21rocsparse_complex_numIdES2_S2_S2_EEvlNS_24const_host_device_scalarIT5_EEPKT1_S8_PKT2_PKT3_PT4_21rocsparse_index_base_b,comdat
	.globl	_ZN9rocsparseL19coomvn_atomic_loopsILj256ELj1Ei21rocsparse_complex_numIdES2_S2_S2_EEvlNS_24const_host_device_scalarIT5_EEPKT1_S8_PKT2_PKT3_PT4_21rocsparse_index_base_b ; -- Begin function _ZN9rocsparseL19coomvn_atomic_loopsILj256ELj1Ei21rocsparse_complex_numIdES2_S2_S2_EEvlNS_24const_host_device_scalarIT5_EEPKT1_S8_PKT2_PKT3_PT4_21rocsparse_index_base_b
	.p2align	8
	.type	_ZN9rocsparseL19coomvn_atomic_loopsILj256ELj1Ei21rocsparse_complex_numIdES2_S2_S2_EEvlNS_24const_host_device_scalarIT5_EEPKT1_S8_PKT2_PKT3_PT4_21rocsparse_index_base_b,@function
_ZN9rocsparseL19coomvn_atomic_loopsILj256ELj1Ei21rocsparse_complex_numIdES2_S2_S2_EEvlNS_24const_host_device_scalarIT5_EEPKT1_S8_PKT2_PKT3_PT4_21rocsparse_index_base_b: ; @_ZN9rocsparseL19coomvn_atomic_loopsILj256ELj1Ei21rocsparse_complex_numIdES2_S2_S2_EEvlNS_24const_host_device_scalarIT5_EEPKT1_S8_PKT2_PKT3_PT4_21rocsparse_index_base_b
; %bb.0:
	s_clause 0x1
	s_load_b64 s[8:9], s[0:1], 0x40
	s_load_b128 s[4:7], s[0:1], 0x0
	v_mov_b32_e32 v13, 0
	s_or_b64 s[2:3], s[0:1], 8
	s_wait_kmcnt 0x0
	s_bitcmp1_b32 s9, 0
	s_cselect_b32 s3, s3, s7
	s_cselect_b32 s2, s2, s6
	flat_load_b128 v[2:5], v13, s[2:3]
	s_wait_loadcnt_dscnt 0x0
	v_cmp_neq_f64_e32 vcc_lo, 0, v[2:3]
	v_cmp_neq_f64_e64 s2, 0, v[4:5]
	s_or_b32 s2, vcc_lo, s2
	s_delay_alu instid0(SALU_CYCLE_1)
	s_and_saveexec_b32 s3, s2
	s_cbranch_execz .LBB35_40
; %bb.1:
	s_bfe_u32 s2, ttmp6, 0x4000c
	v_mov_b64_e32 v[6:7], 0
	s_add_co_i32 s2, s2, 1
	s_and_b32 s3, ttmp6, 15
	s_mul_i32 s2, ttmp9, s2
	s_getreg_b32 s6, hwreg(HW_REG_IB_STS2, 6, 4)
	s_add_co_i32 s3, s3, s2
	s_cmp_eq_u32 s6, 0
	v_mov_b64_e32 v[8:9], v[6:7]
	s_cselect_b32 s2, ttmp9, s3
	v_mov_b32_e32 v10, -1
	v_lshl_or_b32 v12, s2, 8, v0
	s_mov_b32 s2, exec_lo
	s_delay_alu instid0(VALU_DEP_1)
	v_cmpx_gt_i64_e64 s[4:5], v[12:13]
	s_cbranch_execz .LBB35_3
; %bb.2:
	s_load_b256 s[12:19], s[0:1], 0x18
	v_lshlrev_b64_e32 v[6:7], 2, v[12:13]
	s_wait_kmcnt 0x0
	s_delay_alu instid0(VALU_DEP_1)
	v_add_nc_u64_e32 v[8:9], s[14:15], v[6:7]
	v_add_nc_u64_e32 v[6:7], s[12:13], v[6:7]
	global_load_b32 v1, v[8:9], off th:TH_LOAD_NT
	s_wait_xcnt 0x0
	v_lshl_add_u64 v[8:9], v[12:13], 4, s[16:17]
	s_wait_loadcnt 0x0
	v_subrev_nc_u32_e32 v1, s8, v1
	global_load_b128 v[10:13], v[8:9], off th:TH_LOAD_NT
	global_load_b128 v[14:17], v1, s[18:19] scale_offset
	global_load_b32 v1, v[6:7], off th:TH_LOAD_NT
	s_wait_loadcnt 0x1
	s_wait_xcnt 0x0
	v_mul_f64_e64 v[6:7], v[16:17], -v[12:13]
	v_mul_f64_e32 v[8:9], v[10:11], v[16:17]
	s_delay_alu instid0(VALU_DEP_2) | instskip(NEXT) | instid1(VALU_DEP_2)
	v_fmac_f64_e32 v[6:7], v[10:11], v[14:15]
	v_fmac_f64_e32 v[8:9], v[12:13], v[14:15]
	s_wait_loadcnt 0x0
	v_subrev_nc_u32_e32 v10, s8, v1
.LBB35_3:
	s_or_b32 exec_lo, exec_lo, s2
	v_dual_lshlrev_b32 v12, 2, v0 :: v_dual_lshlrev_b32 v11, 4, v0
	s_mov_b32 s2, exec_lo
	ds_store_b32 v12, v10 offset:4096
	ds_store_b128 v11, v[6:9]
	v_or_b32_e32 v1, 0x1000, v12
	s_wait_dscnt 0x0
	s_barrier_signal -1
	s_barrier_wait -1
	v_cmpx_ne_u32_e32 0, v0
	s_cbranch_execz .LBB35_7
; %bb.4:
	v_add_nc_u32_e32 v12, -4, v1
	s_mov_b32 s3, exec_lo
	ds_load_b32 v12, v12
	s_wait_dscnt 0x0
	v_cmpx_eq_u32_e64 v10, v12
	s_cbranch_execz .LBB35_6
; %bb.5:
	v_add_nc_u32_e32 v12, -16, v11
	ds_load_b128 v[12:15], v12
	s_wait_dscnt 0x0
	v_add_f64_e32 v[6:7], v[6:7], v[12:13]
	v_add_f64_e32 v[8:9], v[8:9], v[14:15]
.LBB35_6:
	s_or_b32 exec_lo, exec_lo, s3
.LBB35_7:
	s_delay_alu instid0(SALU_CYCLE_1) | instskip(NEXT) | instid1(SALU_CYCLE_1)
	s_or_b32 exec_lo, exec_lo, s2
	s_mov_b32 s2, exec_lo
	s_barrier_signal -1
	s_barrier_wait -1
	ds_store_b128 v11, v[6:9]
	s_wait_dscnt 0x0
	s_barrier_signal -1
	s_barrier_wait -1
	v_cmpx_lt_u32_e32 1, v0
	s_cbranch_execz .LBB35_11
; %bb.8:
	v_add_nc_u32_e32 v12, -8, v1
	s_mov_b32 s3, exec_lo
	ds_load_b32 v12, v12
	s_wait_dscnt 0x0
	v_cmpx_eq_u32_e64 v10, v12
	s_cbranch_execz .LBB35_10
; %bb.9:
	v_subrev_nc_u32_e32 v12, 32, v11
	ds_load_b128 v[12:15], v12
	s_wait_dscnt 0x0
	v_add_f64_e32 v[6:7], v[6:7], v[12:13]
	v_add_f64_e32 v[8:9], v[8:9], v[14:15]
.LBB35_10:
	s_or_b32 exec_lo, exec_lo, s3
.LBB35_11:
	s_delay_alu instid0(SALU_CYCLE_1) | instskip(NEXT) | instid1(SALU_CYCLE_1)
	s_or_b32 exec_lo, exec_lo, s2
	s_mov_b32 s2, exec_lo
	s_barrier_signal -1
	s_barrier_wait -1
	ds_store_b128 v11, v[6:9]
	s_wait_dscnt 0x0
	s_barrier_signal -1
	s_barrier_wait -1
	v_cmpx_lt_u32_e32 3, v0
	s_cbranch_execz .LBB35_15
; %bb.12:
	v_add_nc_u32_e32 v12, -16, v1
	s_mov_b32 s3, exec_lo
	ds_load_b32 v12, v12
	s_wait_dscnt 0x0
	v_cmpx_eq_u32_e64 v10, v12
	s_cbranch_execz .LBB35_14
; %bb.13:
	v_subrev_nc_u32_e32 v12, 64, v11
	ds_load_b128 v[12:15], v12
	s_wait_dscnt 0x0
	v_add_f64_e32 v[6:7], v[6:7], v[12:13]
	v_add_f64_e32 v[8:9], v[8:9], v[14:15]
.LBB35_14:
	s_or_b32 exec_lo, exec_lo, s3
.LBB35_15:
	s_delay_alu instid0(SALU_CYCLE_1) | instskip(NEXT) | instid1(SALU_CYCLE_1)
	s_or_b32 exec_lo, exec_lo, s2
	s_mov_b32 s2, exec_lo
	s_barrier_signal -1
	s_barrier_wait -1
	ds_store_b128 v11, v[6:9]
	s_wait_dscnt 0x0
	s_barrier_signal -1
	s_barrier_wait -1
	v_cmpx_lt_u32_e32 7, v0
	s_cbranch_execz .LBB35_19
; %bb.16:
	v_subrev_nc_u32_e32 v12, 32, v1
	s_mov_b32 s3, exec_lo
	ds_load_b32 v12, v12
	s_wait_dscnt 0x0
	v_cmpx_eq_u32_e64 v10, v12
	s_cbranch_execz .LBB35_18
; %bb.17:
	v_add_nc_u32_e32 v12, 0xffffff80, v11
	ds_load_b128 v[12:15], v12
	s_wait_dscnt 0x0
	v_add_f64_e32 v[6:7], v[6:7], v[12:13]
	v_add_f64_e32 v[8:9], v[8:9], v[14:15]
.LBB35_18:
	s_or_b32 exec_lo, exec_lo, s3
.LBB35_19:
	s_delay_alu instid0(SALU_CYCLE_1) | instskip(NEXT) | instid1(SALU_CYCLE_1)
	s_or_b32 exec_lo, exec_lo, s2
	s_mov_b32 s2, exec_lo
	s_barrier_signal -1
	s_barrier_wait -1
	ds_store_b128 v11, v[6:9]
	s_wait_dscnt 0x0
	s_barrier_signal -1
	s_barrier_wait -1
	v_cmpx_lt_u32_e32 15, v0
	s_cbranch_execz .LBB35_23
; %bb.20:
	v_subrev_nc_u32_e32 v12, 64, v1
	s_mov_b32 s3, exec_lo
	ds_load_b32 v12, v12
	s_wait_dscnt 0x0
	v_cmpx_eq_u32_e64 v10, v12
	s_cbranch_execz .LBB35_22
; %bb.21:
	v_add_nc_u32_e32 v12, 0xffffff00, v11
	ds_load_b128 v[12:15], v12
	s_wait_dscnt 0x0
	v_add_f64_e32 v[6:7], v[6:7], v[12:13]
	v_add_f64_e32 v[8:9], v[8:9], v[14:15]
.LBB35_22:
	s_or_b32 exec_lo, exec_lo, s3
.LBB35_23:
	s_delay_alu instid0(SALU_CYCLE_1) | instskip(NEXT) | instid1(SALU_CYCLE_1)
	s_or_b32 exec_lo, exec_lo, s2
	s_mov_b32 s2, exec_lo
	s_barrier_signal -1
	s_barrier_wait -1
	ds_store_b128 v11, v[6:9]
	s_wait_dscnt 0x0
	s_barrier_signal -1
	s_barrier_wait -1
	v_cmpx_lt_u32_e32 31, v0
	s_cbranch_execz .LBB35_27
; %bb.24:
	v_add_nc_u32_e32 v12, 0xffffff80, v1
	s_mov_b32 s3, exec_lo
	ds_load_b32 v12, v12
	s_wait_dscnt 0x0
	v_cmpx_eq_u32_e64 v10, v12
	s_cbranch_execz .LBB35_26
; %bb.25:
	v_add_nc_u32_e32 v12, 0xfffffe00, v11
	ds_load_b128 v[12:15], v12
	s_wait_dscnt 0x0
	v_add_f64_e32 v[6:7], v[6:7], v[12:13]
	v_add_f64_e32 v[8:9], v[8:9], v[14:15]
.LBB35_26:
	s_or_b32 exec_lo, exec_lo, s3
.LBB35_27:
	s_delay_alu instid0(SALU_CYCLE_1) | instskip(NEXT) | instid1(SALU_CYCLE_1)
	s_or_b32 exec_lo, exec_lo, s2
	s_mov_b32 s2, exec_lo
	s_barrier_signal -1
	s_barrier_wait -1
	ds_store_b128 v11, v[6:9]
	s_wait_dscnt 0x0
	s_barrier_signal -1
	s_barrier_wait -1
	v_cmpx_lt_u32_e32 63, v0
	s_cbranch_execz .LBB35_31
; %bb.28:
	v_add_nc_u32_e32 v12, 0xffffff00, v1
	s_mov_b32 s3, exec_lo
	ds_load_b32 v12, v12
	s_wait_dscnt 0x0
	v_cmpx_eq_u32_e64 v10, v12
	s_cbranch_execz .LBB35_30
; %bb.29:
	v_add_nc_u32_e32 v12, 0xfffffc00, v11
	ds_load_b128 v[12:15], v12
	s_wait_dscnt 0x0
	v_add_f64_e32 v[6:7], v[6:7], v[12:13]
	v_add_f64_e32 v[8:9], v[8:9], v[14:15]
.LBB35_30:
	s_or_b32 exec_lo, exec_lo, s3
.LBB35_31:
	s_delay_alu instid0(SALU_CYCLE_1)
	s_or_b32 exec_lo, exec_lo, s2
	s_load_b64 s[2:3], s[0:1], 0x38
	s_wait_xcnt 0x0
	s_mov_b32 s0, exec_lo
	s_barrier_signal -1
	s_barrier_wait -1
	ds_store_b128 v11, v[6:9]
	s_wait_dscnt 0x0
	s_barrier_signal -1
	s_barrier_wait -1
	v_cmpx_lt_u32_e32 0x7f, v0
	s_cbranch_execz .LBB35_35
; %bb.32:
	v_add_nc_u32_e32 v12, 0xfffffe00, v1
	s_mov_b32 s1, exec_lo
	ds_load_b32 v12, v12
	s_wait_dscnt 0x0
	v_cmpx_eq_u32_e64 v10, v12
	s_cbranch_execz .LBB35_34
; %bb.33:
	v_add_nc_u32_e32 v12, 0xfffff800, v11
	ds_load_b128 v[12:15], v12
	s_wait_dscnt 0x0
	v_add_f64_e32 v[6:7], v[6:7], v[12:13]
	v_add_f64_e32 v[8:9], v[8:9], v[14:15]
.LBB35_34:
	s_or_b32 exec_lo, exec_lo, s1
.LBB35_35:
	s_delay_alu instid0(SALU_CYCLE_1) | instskip(NEXT) | instid1(SALU_CYCLE_1)
	s_or_b32 exec_lo, exec_lo, s0
	s_mov_b32 s1, exec_lo
	s_barrier_signal -1
	s_barrier_wait -1
	ds_store_b128 v11, v[6:9]
	s_wait_dscnt 0x0
	s_barrier_signal -1
	s_barrier_wait -1
	v_cmpx_gt_u32_e32 0xff, v0
	s_cbranch_execz .LBB35_38
; %bb.36:
	ds_load_b32 v1, v1 offset:4
	v_cmp_lt_i32_e64 s0, -1, v10
	s_wait_dscnt 0x0
	v_cmp_ne_u32_e32 vcc_lo, v10, v1
	s_and_b32 s0, s0, vcc_lo
	s_delay_alu instid0(SALU_CYCLE_1)
	s_and_b32 exec_lo, exec_lo, s0
	s_cbranch_execz .LBB35_38
; %bb.37:
	v_dual_mul_f64 v[12:13], v[8:9], -v[4:5] :: v_dual_mov_b32 v11, 0
	v_mul_f64_e32 v[14:15], v[2:3], v[8:9]
	s_wait_kmcnt 0x0
	s_delay_alu instid0(VALU_DEP_2) | instskip(NEXT) | instid1(VALU_DEP_3)
	v_lshl_add_u64 v[16:17], v[10:11], 4, s[2:3]
	v_fmac_f64_e32 v[12:13], v[2:3], v[6:7]
	s_delay_alu instid0(VALU_DEP_3)
	v_fmac_f64_e32 v[14:15], v[4:5], v[6:7]
	global_atomic_add_f64 v[16:17], v[12:13], off scope:SCOPE_DEV
	s_wait_xcnt 0x0
	global_atomic_add_f64 v[16:17], v[14:15], off offset:8 scope:SCOPE_DEV
.LBB35_38:
	s_wait_xcnt 0x0
	s_or_b32 exec_lo, exec_lo, s1
	v_cmp_eq_u32_e32 vcc_lo, 0xff, v0
	v_cmp_lt_i32_e64 s0, -1, v10
	s_and_b32 s0, vcc_lo, s0
	s_delay_alu instid0(SALU_CYCLE_1)
	s_and_b32 exec_lo, exec_lo, s0
	s_cbranch_execz .LBB35_40
; %bb.39:
	v_dual_mul_f64 v[0:1], v[8:9], -v[4:5] :: v_dual_mov_b32 v11, 0
	v_mul_f64_e32 v[8:9], v[2:3], v[8:9]
	s_delay_alu instid0(VALU_DEP_2) | instskip(SKIP_1) | instid1(VALU_DEP_3)
	v_fmac_f64_e32 v[0:1], v[2:3], v[6:7]
	s_wait_kmcnt 0x0
	v_lshl_add_u64 v[2:3], v[10:11], 4, s[2:3]
	s_delay_alu instid0(VALU_DEP_3)
	v_fmac_f64_e32 v[8:9], v[4:5], v[6:7]
	global_atomic_add_f64 v[2:3], v[0:1], off scope:SCOPE_DEV
	s_wait_xcnt 0x0
	global_atomic_add_f64 v[2:3], v[8:9], off offset:8 scope:SCOPE_DEV
.LBB35_40:
	s_endpgm
	.section	.rodata,"a",@progbits
	.p2align	6, 0x0
	.amdhsa_kernel _ZN9rocsparseL19coomvn_atomic_loopsILj256ELj1Ei21rocsparse_complex_numIdES2_S2_S2_EEvlNS_24const_host_device_scalarIT5_EEPKT1_S8_PKT2_PKT3_PT4_21rocsparse_index_base_b
		.amdhsa_group_segment_fixed_size 5120
		.amdhsa_private_segment_fixed_size 0
		.amdhsa_kernarg_size 72
		.amdhsa_user_sgpr_count 2
		.amdhsa_user_sgpr_dispatch_ptr 0
		.amdhsa_user_sgpr_queue_ptr 0
		.amdhsa_user_sgpr_kernarg_segment_ptr 1
		.amdhsa_user_sgpr_dispatch_id 0
		.amdhsa_user_sgpr_kernarg_preload_length 0
		.amdhsa_user_sgpr_kernarg_preload_offset 0
		.amdhsa_user_sgpr_private_segment_size 0
		.amdhsa_wavefront_size32 1
		.amdhsa_uses_dynamic_stack 0
		.amdhsa_enable_private_segment 0
		.amdhsa_system_sgpr_workgroup_id_x 1
		.amdhsa_system_sgpr_workgroup_id_y 0
		.amdhsa_system_sgpr_workgroup_id_z 0
		.amdhsa_system_sgpr_workgroup_info 0
		.amdhsa_system_vgpr_workitem_id 0
		.amdhsa_next_free_vgpr 18
		.amdhsa_next_free_sgpr 20
		.amdhsa_named_barrier_count 0
		.amdhsa_reserve_vcc 1
		.amdhsa_float_round_mode_32 0
		.amdhsa_float_round_mode_16_64 0
		.amdhsa_float_denorm_mode_32 3
		.amdhsa_float_denorm_mode_16_64 3
		.amdhsa_fp16_overflow 0
		.amdhsa_memory_ordered 1
		.amdhsa_forward_progress 1
		.amdhsa_inst_pref_size 12
		.amdhsa_round_robin_scheduling 0
		.amdhsa_exception_fp_ieee_invalid_op 0
		.amdhsa_exception_fp_denorm_src 0
		.amdhsa_exception_fp_ieee_div_zero 0
		.amdhsa_exception_fp_ieee_overflow 0
		.amdhsa_exception_fp_ieee_underflow 0
		.amdhsa_exception_fp_ieee_inexact 0
		.amdhsa_exception_int_div_zero 0
	.end_amdhsa_kernel
	.section	.text._ZN9rocsparseL19coomvn_atomic_loopsILj256ELj1Ei21rocsparse_complex_numIdES2_S2_S2_EEvlNS_24const_host_device_scalarIT5_EEPKT1_S8_PKT2_PKT3_PT4_21rocsparse_index_base_b,"axG",@progbits,_ZN9rocsparseL19coomvn_atomic_loopsILj256ELj1Ei21rocsparse_complex_numIdES2_S2_S2_EEvlNS_24const_host_device_scalarIT5_EEPKT1_S8_PKT2_PKT3_PT4_21rocsparse_index_base_b,comdat
.Lfunc_end35:
	.size	_ZN9rocsparseL19coomvn_atomic_loopsILj256ELj1Ei21rocsparse_complex_numIdES2_S2_S2_EEvlNS_24const_host_device_scalarIT5_EEPKT1_S8_PKT2_PKT3_PT4_21rocsparse_index_base_b, .Lfunc_end35-_ZN9rocsparseL19coomvn_atomic_loopsILj256ELj1Ei21rocsparse_complex_numIdES2_S2_S2_EEvlNS_24const_host_device_scalarIT5_EEPKT1_S8_PKT2_PKT3_PT4_21rocsparse_index_base_b
                                        ; -- End function
	.set _ZN9rocsparseL19coomvn_atomic_loopsILj256ELj1Ei21rocsparse_complex_numIdES2_S2_S2_EEvlNS_24const_host_device_scalarIT5_EEPKT1_S8_PKT2_PKT3_PT4_21rocsparse_index_base_b.num_vgpr, 18
	.set _ZN9rocsparseL19coomvn_atomic_loopsILj256ELj1Ei21rocsparse_complex_numIdES2_S2_S2_EEvlNS_24const_host_device_scalarIT5_EEPKT1_S8_PKT2_PKT3_PT4_21rocsparse_index_base_b.num_agpr, 0
	.set _ZN9rocsparseL19coomvn_atomic_loopsILj256ELj1Ei21rocsparse_complex_numIdES2_S2_S2_EEvlNS_24const_host_device_scalarIT5_EEPKT1_S8_PKT2_PKT3_PT4_21rocsparse_index_base_b.numbered_sgpr, 20
	.set _ZN9rocsparseL19coomvn_atomic_loopsILj256ELj1Ei21rocsparse_complex_numIdES2_S2_S2_EEvlNS_24const_host_device_scalarIT5_EEPKT1_S8_PKT2_PKT3_PT4_21rocsparse_index_base_b.num_named_barrier, 0
	.set _ZN9rocsparseL19coomvn_atomic_loopsILj256ELj1Ei21rocsparse_complex_numIdES2_S2_S2_EEvlNS_24const_host_device_scalarIT5_EEPKT1_S8_PKT2_PKT3_PT4_21rocsparse_index_base_b.private_seg_size, 0
	.set _ZN9rocsparseL19coomvn_atomic_loopsILj256ELj1Ei21rocsparse_complex_numIdES2_S2_S2_EEvlNS_24const_host_device_scalarIT5_EEPKT1_S8_PKT2_PKT3_PT4_21rocsparse_index_base_b.uses_vcc, 1
	.set _ZN9rocsparseL19coomvn_atomic_loopsILj256ELj1Ei21rocsparse_complex_numIdES2_S2_S2_EEvlNS_24const_host_device_scalarIT5_EEPKT1_S8_PKT2_PKT3_PT4_21rocsparse_index_base_b.uses_flat_scratch, 0
	.set _ZN9rocsparseL19coomvn_atomic_loopsILj256ELj1Ei21rocsparse_complex_numIdES2_S2_S2_EEvlNS_24const_host_device_scalarIT5_EEPKT1_S8_PKT2_PKT3_PT4_21rocsparse_index_base_b.has_dyn_sized_stack, 0
	.set _ZN9rocsparseL19coomvn_atomic_loopsILj256ELj1Ei21rocsparse_complex_numIdES2_S2_S2_EEvlNS_24const_host_device_scalarIT5_EEPKT1_S8_PKT2_PKT3_PT4_21rocsparse_index_base_b.has_recursion, 0
	.set _ZN9rocsparseL19coomvn_atomic_loopsILj256ELj1Ei21rocsparse_complex_numIdES2_S2_S2_EEvlNS_24const_host_device_scalarIT5_EEPKT1_S8_PKT2_PKT3_PT4_21rocsparse_index_base_b.has_indirect_call, 0
	.section	.AMDGPU.csdata,"",@progbits
; Kernel info:
; codeLenInByte = 1508
; TotalNumSgprs: 22
; NumVgprs: 18
; ScratchSize: 0
; MemoryBound: 0
; FloatMode: 240
; IeeeMode: 1
; LDSByteSize: 5120 bytes/workgroup (compile time only)
; SGPRBlocks: 0
; VGPRBlocks: 1
; NumSGPRsForWavesPerEU: 22
; NumVGPRsForWavesPerEU: 18
; NamedBarCnt: 0
; Occupancy: 16
; WaveLimiterHint : 1
; COMPUTE_PGM_RSRC2:SCRATCH_EN: 0
; COMPUTE_PGM_RSRC2:USER_SGPR: 2
; COMPUTE_PGM_RSRC2:TRAP_HANDLER: 0
; COMPUTE_PGM_RSRC2:TGID_X_EN: 1
; COMPUTE_PGM_RSRC2:TGID_Y_EN: 0
; COMPUTE_PGM_RSRC2:TGID_Z_EN: 0
; COMPUTE_PGM_RSRC2:TIDIG_COMP_CNT: 0
	.section	.text._ZN9rocsparseL19coomvn_atomic_loopsILj256ELj2Ei21rocsparse_complex_numIdES2_S2_S2_EEvlNS_24const_host_device_scalarIT5_EEPKT1_S8_PKT2_PKT3_PT4_21rocsparse_index_base_b,"axG",@progbits,_ZN9rocsparseL19coomvn_atomic_loopsILj256ELj2Ei21rocsparse_complex_numIdES2_S2_S2_EEvlNS_24const_host_device_scalarIT5_EEPKT1_S8_PKT2_PKT3_PT4_21rocsparse_index_base_b,comdat
	.globl	_ZN9rocsparseL19coomvn_atomic_loopsILj256ELj2Ei21rocsparse_complex_numIdES2_S2_S2_EEvlNS_24const_host_device_scalarIT5_EEPKT1_S8_PKT2_PKT3_PT4_21rocsparse_index_base_b ; -- Begin function _ZN9rocsparseL19coomvn_atomic_loopsILj256ELj2Ei21rocsparse_complex_numIdES2_S2_S2_EEvlNS_24const_host_device_scalarIT5_EEPKT1_S8_PKT2_PKT3_PT4_21rocsparse_index_base_b
	.p2align	8
	.type	_ZN9rocsparseL19coomvn_atomic_loopsILj256ELj2Ei21rocsparse_complex_numIdES2_S2_S2_EEvlNS_24const_host_device_scalarIT5_EEPKT1_S8_PKT2_PKT3_PT4_21rocsparse_index_base_b,@function
_ZN9rocsparseL19coomvn_atomic_loopsILj256ELj2Ei21rocsparse_complex_numIdES2_S2_S2_EEvlNS_24const_host_device_scalarIT5_EEPKT1_S8_PKT2_PKT3_PT4_21rocsparse_index_base_b: ; @_ZN9rocsparseL19coomvn_atomic_loopsILj256ELj2Ei21rocsparse_complex_numIdES2_S2_S2_EEvlNS_24const_host_device_scalarIT5_EEPKT1_S8_PKT2_PKT3_PT4_21rocsparse_index_base_b
; %bb.0:
	s_clause 0x1
	s_load_b64 s[24:25], s[0:1], 0x40
	s_load_b128 s[20:23], s[0:1], 0x0
	v_mov_b32_e32 v11, 0
	s_or_b64 s[2:3], s[0:1], 8
	s_wait_kmcnt 0x0
	s_bitcmp1_b32 s25, 0
	s_cselect_b32 s3, s3, s23
	s_cselect_b32 s2, s2, s22
	flat_load_b128 v[2:5], v11, s[2:3]
	s_wait_loadcnt_dscnt 0x0
	v_cmp_neq_f64_e32 vcc_lo, 0, v[2:3]
	v_cmp_neq_f64_e64 s2, 0, v[4:5]
	s_or_b32 s2, vcc_lo, s2
	s_delay_alu instid0(SALU_CYCLE_1)
	s_and_saveexec_b32 s3, s2
	s_cbranch_execz .LBB36_92
; %bb.1:
	s_load_b256 s[12:19], s[0:1], 0x18
	s_bfe_u32 s2, ttmp6, 0x4000c
	s_and_b32 s3, ttmp6, 15
	s_add_co_i32 s2, s2, 1
	s_getreg_b32 s4, hwreg(HW_REG_IB_STS2, 6, 4)
	s_mul_i32 s2, ttmp9, s2
	v_mov_b64_e32 v[6:7], 0
	s_add_co_i32 s3, s3, s2
	s_cmp_eq_u32 s4, 0
	v_mov_b32_e32 v14, -1
	s_cselect_b32 s2, ttmp9, s3
	s_delay_alu instid0(SALU_CYCLE_1) | instskip(NEXT) | instid1(VALU_DEP_3)
	v_lshl_or_b32 v10, s2, 9, v0
	v_mov_b64_e32 v[8:9], v[6:7]
	s_mov_b32 s2, exec_lo
	s_delay_alu instid0(VALU_DEP_2)
	v_lshlrev_b64_e32 v[12:13], 2, v[10:11]
	s_wait_kmcnt 0x0
	v_lshl_add_u64 v[16:17], v[10:11], 4, s[16:17]
	v_cmpx_gt_i64_e64 s[20:21], v[10:11]
	s_cbranch_execz .LBB36_3
; %bb.2:
	s_delay_alu instid0(VALU_DEP_3)
	v_add_nc_u64_e32 v[6:7], s[14:15], v[12:13]
	global_load_b32 v1, v[6:7], off th:TH_LOAD_NT
	s_wait_xcnt 0x0
	v_add_nc_u64_e32 v[6:7], s[12:13], v[12:13]
	s_wait_loadcnt 0x0
	v_subrev_nc_u32_e32 v1, s24, v1
	global_load_b128 v[18:21], v[16:17], off th:TH_LOAD_NT
	global_load_b128 v[22:25], v1, s[18:19] scale_offset
	global_load_b32 v1, v[6:7], off th:TH_LOAD_NT
	s_wait_loadcnt 0x1
	s_wait_xcnt 0x0
	v_mul_f64_e64 v[6:7], v[24:25], -v[20:21]
	v_mul_f64_e32 v[8:9], v[18:19], v[24:25]
	s_wait_loadcnt 0x0
	v_subrev_nc_u32_e32 v14, s24, v1
	s_delay_alu instid0(VALU_DEP_3) | instskip(NEXT) | instid1(VALU_DEP_3)
	v_fmac_f64_e32 v[6:7], v[18:19], v[22:23]
	v_fmac_f64_e32 v[8:9], v[20:21], v[22:23]
.LBB36_3:
	s_or_b32 exec_lo, exec_lo, s2
	v_dual_lshlrev_b32 v15, 2, v0 :: v_dual_lshlrev_b32 v20, 4, v0
	v_cmp_eq_u32_e64 s8, 0, v0
	v_cmp_ne_u32_e32 vcc_lo, 0, v0
	ds_store_b32 v15, v14 offset:4096
	ds_store_b128 v20, v[6:9]
	v_or_b32_e32 v1, 0x1000, v15
	s_wait_dscnt 0x0
	s_barrier_signal -1
	s_barrier_wait -1
	s_delay_alu instid0(VALU_DEP_1)
	v_add_nc_u32_e32 v21, -4, v1
	s_and_saveexec_b32 s3, vcc_lo
	s_cbranch_execz .LBB36_7
; %bb.4:
	ds_load_b32 v15, v21
	s_mov_b32 s4, exec_lo
	s_wait_dscnt 0x0
	v_cmpx_eq_u32_e64 v14, v15
	s_cbranch_execz .LBB36_6
; %bb.5:
	v_add_nc_u32_e32 v15, -16, v20
	ds_load_b128 v[22:25], v15
	s_wait_dscnt 0x0
	v_add_f64_e32 v[6:7], v[6:7], v[22:23]
	v_add_f64_e32 v[8:9], v[8:9], v[24:25]
.LBB36_6:
	s_or_b32 exec_lo, exec_lo, s4
.LBB36_7:
	s_delay_alu instid0(SALU_CYCLE_1)
	s_or_b32 exec_lo, exec_lo, s3
	v_cmp_lt_u32_e64 s2, 1, v0
	v_add_nc_u32_e32 v22, -8, v1
	s_barrier_signal -1
	s_barrier_wait -1
	ds_store_b128 v20, v[6:9]
	s_wait_dscnt 0x0
	s_barrier_signal -1
	s_barrier_wait -1
	s_and_saveexec_b32 s4, s2
	s_cbranch_execz .LBB36_11
; %bb.8:
	ds_load_b32 v15, v22
	s_mov_b32 s5, exec_lo
	s_wait_dscnt 0x0
	v_cmpx_eq_u32_e64 v14, v15
	s_cbranch_execz .LBB36_10
; %bb.9:
	v_subrev_nc_u32_e32 v15, 32, v20
	ds_load_b128 v[24:27], v15
	s_wait_dscnt 0x0
	v_add_f64_e32 v[6:7], v[6:7], v[24:25]
	v_add_f64_e32 v[8:9], v[8:9], v[26:27]
.LBB36_10:
	s_or_b32 exec_lo, exec_lo, s5
.LBB36_11:
	s_delay_alu instid0(SALU_CYCLE_1)
	s_or_b32 exec_lo, exec_lo, s4
	v_cmp_lt_u32_e64 s3, 3, v0
	v_add_nc_u32_e32 v23, -16, v1
	s_barrier_signal -1
	s_barrier_wait -1
	ds_store_b128 v20, v[6:9]
	s_wait_dscnt 0x0
	s_barrier_signal -1
	s_barrier_wait -1
	s_and_saveexec_b32 s5, s3
	s_cbranch_execz .LBB36_15
; %bb.12:
	ds_load_b32 v15, v23
	s_mov_b32 s6, exec_lo
	s_wait_dscnt 0x0
	v_cmpx_eq_u32_e64 v14, v15
	s_cbranch_execz .LBB36_14
; %bb.13:
	v_subrev_nc_u32_e32 v15, 64, v20
	ds_load_b128 v[24:27], v15
	s_wait_dscnt 0x0
	v_add_f64_e32 v[6:7], v[6:7], v[24:25]
	v_add_f64_e32 v[8:9], v[8:9], v[26:27]
.LBB36_14:
	s_or_b32 exec_lo, exec_lo, s6
.LBB36_15:
	s_delay_alu instid0(SALU_CYCLE_1)
	s_or_b32 exec_lo, exec_lo, s5
	v_cmp_lt_u32_e64 s4, 7, v0
	v_subrev_nc_u32_e32 v24, 32, v1
	s_barrier_signal -1
	s_barrier_wait -1
	ds_store_b128 v20, v[6:9]
	s_wait_dscnt 0x0
	s_barrier_signal -1
	s_barrier_wait -1
	s_and_saveexec_b32 s6, s4
	s_cbranch_execz .LBB36_19
; %bb.16:
	ds_load_b32 v15, v24
	s_mov_b32 s7, exec_lo
	s_wait_dscnt 0x0
	v_cmpx_eq_u32_e64 v14, v15
	s_cbranch_execz .LBB36_18
; %bb.17:
	v_add_nc_u32_e32 v15, 0xffffff80, v20
	ds_load_b128 v[26:29], v15
	s_wait_dscnt 0x0
	v_add_f64_e32 v[6:7], v[6:7], v[26:27]
	v_add_f64_e32 v[8:9], v[8:9], v[28:29]
.LBB36_18:
	s_or_b32 exec_lo, exec_lo, s7
.LBB36_19:
	s_delay_alu instid0(SALU_CYCLE_1)
	s_or_b32 exec_lo, exec_lo, s6
	v_cmp_lt_u32_e64 s5, 15, v0
	v_subrev_nc_u32_e32 v25, 64, v1
	s_barrier_signal -1
	s_barrier_wait -1
	ds_store_b128 v20, v[6:9]
	s_wait_dscnt 0x0
	s_barrier_signal -1
	s_barrier_wait -1
	s_and_saveexec_b32 s7, s5
	s_cbranch_execz .LBB36_23
; %bb.20:
	ds_load_b32 v15, v25
	s_mov_b32 s9, exec_lo
	s_wait_dscnt 0x0
	v_cmpx_eq_u32_e64 v14, v15
	s_cbranch_execz .LBB36_22
; %bb.21:
	v_add_nc_u32_e32 v15, 0xffffff00, v20
	ds_load_b128 v[26:29], v15
	s_wait_dscnt 0x0
	v_add_f64_e32 v[6:7], v[6:7], v[26:27]
	v_add_f64_e32 v[8:9], v[8:9], v[28:29]
.LBB36_22:
	s_or_b32 exec_lo, exec_lo, s9
.LBB36_23:
	s_delay_alu instid0(SALU_CYCLE_1)
	s_or_b32 exec_lo, exec_lo, s7
	v_cmp_lt_u32_e64 s6, 31, v0
	v_add_nc_u32_e32 v26, 0xffffff80, v1
	s_barrier_signal -1
	s_barrier_wait -1
	ds_store_b128 v20, v[6:9]
	s_wait_dscnt 0x0
	s_barrier_signal -1
	s_barrier_wait -1
	s_and_saveexec_b32 s9, s6
	s_cbranch_execz .LBB36_27
; %bb.24:
	ds_load_b32 v15, v26
	s_mov_b32 s10, exec_lo
	s_wait_dscnt 0x0
	v_cmpx_eq_u32_e64 v14, v15
	s_cbranch_execz .LBB36_26
; %bb.25:
	v_add_nc_u32_e32 v15, 0xfffffe00, v20
	ds_load_b128 v[28:31], v15
	s_wait_dscnt 0x0
	v_add_f64_e32 v[6:7], v[6:7], v[28:29]
	v_add_f64_e32 v[8:9], v[8:9], v[30:31]
.LBB36_26:
	s_or_b32 exec_lo, exec_lo, s10
.LBB36_27:
	s_delay_alu instid0(SALU_CYCLE_1)
	s_or_b32 exec_lo, exec_lo, s9
	v_cmp_lt_u32_e64 s7, 63, v0
	v_add_nc_u32_e32 v27, 0xffffff00, v1
	s_barrier_signal -1
	s_barrier_wait -1
	ds_store_b128 v20, v[6:9]
	s_wait_dscnt 0x0
	s_barrier_signal -1
	s_barrier_wait -1
	s_and_saveexec_b32 s10, s7
	s_cbranch_execz .LBB36_31
; %bb.28:
	ds_load_b32 v15, v27
	s_mov_b32 s11, exec_lo
	s_wait_dscnt 0x0
	v_cmpx_eq_u32_e64 v14, v15
	s_cbranch_execz .LBB36_30
; %bb.29:
	v_add_nc_u32_e32 v15, 0xfffffc00, v20
	ds_load_b128 v[28:31], v15
	s_wait_dscnt 0x0
	v_add_f64_e32 v[6:7], v[6:7], v[28:29]
	v_add_f64_e32 v[8:9], v[8:9], v[30:31]
.LBB36_30:
	s_or_b32 exec_lo, exec_lo, s11
.LBB36_31:
	s_delay_alu instid0(SALU_CYCLE_1)
	s_or_b32 exec_lo, exec_lo, s10
	s_load_b64 s[16:17], s[0:1], 0x38
	s_wait_xcnt 0x0
	v_cmp_lt_u32_e64 s0, 0x7f, v0
	v_add_nc_u32_e32 v28, 0xfffffe00, v1
	s_barrier_signal -1
	s_barrier_wait -1
	ds_store_b128 v20, v[6:9]
	s_wait_dscnt 0x0
	s_barrier_signal -1
	s_barrier_wait -1
	s_and_saveexec_b32 s9, s0
	s_cbranch_execz .LBB36_35
; %bb.32:
	ds_load_b32 v15, v28
	s_mov_b32 s10, exec_lo
	s_wait_dscnt 0x0
	v_cmpx_eq_u32_e64 v14, v15
	s_cbranch_execz .LBB36_34
; %bb.33:
	v_add_nc_u32_e32 v15, 0xfffff800, v20
	ds_load_b128 v[30:33], v15
	s_wait_dscnt 0x0
	v_add_f64_e32 v[6:7], v[6:7], v[30:31]
	v_add_f64_e32 v[8:9], v[8:9], v[32:33]
.LBB36_34:
	s_or_b32 exec_lo, exec_lo, s10
.LBB36_35:
	s_delay_alu instid0(SALU_CYCLE_1)
	s_or_b32 exec_lo, exec_lo, s9
	v_cmp_gt_u32_e64 s1, 0xff, v0
	s_barrier_signal -1
	s_barrier_wait -1
	ds_store_b128 v20, v[6:9]
	s_wait_dscnt 0x0
	s_barrier_signal -1
	s_barrier_wait -1
	s_and_saveexec_b32 s11, s1
	s_cbranch_execz .LBB36_38
; %bb.36:
	ds_load_b32 v15, v1 offset:4
	v_cmp_lt_i32_e64 s10, -1, v14
	s_wait_dscnt 0x0
	v_cmp_ne_u32_e64 s9, v14, v15
	s_and_b32 s9, s10, s9
	s_delay_alu instid0(SALU_CYCLE_1)
	s_and_b32 exec_lo, exec_lo, s9
	s_cbranch_execz .LBB36_38
; %bb.37:
	v_dual_mul_f64 v[18:19], v[8:9], -v[4:5] :: v_dual_mov_b32 v15, 0
	v_mul_f64_e32 v[8:9], v[2:3], v[8:9]
	s_delay_alu instid0(VALU_DEP_2) | instskip(NEXT) | instid1(VALU_DEP_2)
	v_fmac_f64_e32 v[18:19], v[2:3], v[6:7]
	v_fmac_f64_e32 v[8:9], v[4:5], v[6:7]
	s_wait_kmcnt 0x0
	v_lshl_add_u64 v[6:7], v[14:15], 4, s[16:17]
	global_atomic_add_f64 v[6:7], v[18:19], off scope:SCOPE_DEV
	s_wait_xcnt 0x0
	global_atomic_add_f64 v[6:7], v[8:9], off offset:8 scope:SCOPE_DEV
.LBB36_38:
	s_wait_xcnt 0x0
	s_or_b32 exec_lo, exec_lo, s11
	v_add_nc_u64_e32 v[8:9], 0x100, v[10:11]
	v_mov_b64_e32 v[6:7], 0
	v_mov_b32_e32 v14, -1
	s_delay_alu instid0(VALU_DEP_3)
	v_cmp_gt_i64_e64 s9, s[20:21], v[8:9]
	v_mov_b64_e32 v[8:9], 0
	s_and_saveexec_b32 s10, s9
	s_cbranch_execz .LBB36_40
; %bb.39:
	v_add_nc_u64_e32 v[6:7], s[14:15], v[12:13]
	global_load_b32 v6, v[6:7], off offset:1024 th:TH_LOAD_NT
	s_wait_loadcnt 0x0
	v_subrev_nc_u32_e32 v6, s24, v6
	global_load_b128 v[30:33], v[16:17], off offset:4096 th:TH_LOAD_NT
	global_load_b128 v[34:37], v6, s[18:19] scale_offset
	s_wait_xcnt 0x0
	v_add_nc_u64_e32 v[6:7], s[12:13], v[12:13]
	global_load_b32 v10, v[6:7], off offset:1024 th:TH_LOAD_NT
	s_wait_loadcnt 0x1
	s_wait_xcnt 0x0
	v_mul_f64_e64 v[6:7], v[36:37], -v[32:33]
	v_mul_f64_e32 v[8:9], v[30:31], v[36:37]
	s_wait_loadcnt 0x0
	v_subrev_nc_u32_e32 v14, s24, v10
	s_delay_alu instid0(VALU_DEP_3) | instskip(NEXT) | instid1(VALU_DEP_3)
	v_fmac_f64_e32 v[6:7], v[30:31], v[34:35]
	v_fmac_f64_e32 v[8:9], v[32:33], v[34:35]
.LBB36_40:
	s_or_b32 exec_lo, exec_lo, s10
	s_and_saveexec_b32 s9, s8
	s_cbranch_execz .LBB36_55
; %bb.41:
	v_mov_b32_e32 v10, 0
	s_mov_b32 s11, exec_lo
	ds_load_b32 v10, v10 offset:5116
	s_wait_dscnt 0x0
	v_readfirstlane_b32 s10, v10
	v_cmpx_ne_u32_e64 v14, v10
	s_xor_b32 s12, exec_lo, s11
	s_cbranch_execz .LBB36_52
; %bb.42:
	s_cmp_lt_i32 s10, 0
	s_cbranch_scc1 .LBB36_52
; %bb.43:
	v_mov_b32_e32 v10, 0
	v_mov_b64_e32 v[16:17], 0x8000000000000000
	s_mov_b32 s8, exec_lo
	ds_load_b128 v[10:13], v10 offset:4080
	s_wait_dscnt 0x0
	v_mul_f64_e64 v[18:19], v[12:13], -v[4:5]
	s_delay_alu instid0(VALU_DEP_1)
	v_fmac_f64_e32 v[18:19], v[2:3], v[10:11]
.LBB36_44:                              ; =>This Inner Loop Header: Depth=1
	s_ctz_i32_b32 s11, s8
	s_delay_alu instid0(VALU_DEP_1) | instid1(SALU_CYCLE_1)
	v_readlane_b32 s15, v19, s11
	s_delay_alu instid0(VALU_DEP_2) | instskip(SKIP_1) | instid1(SALU_CYCLE_1)
	v_readlane_b32 s14, v18, s11
	s_lshl_b32 s11, 1, s11
	s_and_not1_b32 s8, s8, s11
	v_add_f64_e32 v[16:17], s[14:15], v[16:17]
	s_cmp_lg_u32 s8, 0
	s_cbranch_scc1 .LBB36_44
; %bb.45:
	v_mbcnt_lo_u32_b32 v15, exec_lo, 0
	s_mov_b32 s11, 0
	s_delay_alu instid0(SALU_CYCLE_1) | instskip(SKIP_4) | instid1(SALU_CYCLE_1)
	s_lshl_b64 s[10:11], s[10:11], 4
	s_wait_kmcnt 0x0
	s_add_nc_u64 s[10:11], s[16:17], s[10:11]
	v_cmp_eq_u32_e64 s8, 0, v15
	s_and_saveexec_b32 s13, s8
	s_xor_b32 s8, exec_lo, s13
	s_cbranch_execz .LBB36_47
; %bb.46:
	v_mov_b32_e32 v15, 0
	global_atomic_add_f64 v15, v[16:17], s[10:11] scope:SCOPE_DEV
.LBB36_47:
	s_wait_xcnt 0x0
	s_or_b32 exec_lo, exec_lo, s8
	v_mul_f64_e32 v[12:13], v[2:3], v[12:13]
	s_mov_b32 s8, exec_lo
	s_delay_alu instid0(VALU_DEP_1)
	v_fmac_f64_e32 v[12:13], v[4:5], v[10:11]
	v_mov_b64_e32 v[10:11], 0x8000000000000000
.LBB36_48:                              ; =>This Inner Loop Header: Depth=1
	s_ctz_i32_b32 s13, s8
	s_delay_alu instid0(VALU_DEP_2) | instid1(SALU_CYCLE_1)
	v_readlane_b32 s15, v13, s13
	s_delay_alu instid0(VALU_DEP_3) | instskip(SKIP_1) | instid1(SALU_CYCLE_1)
	v_readlane_b32 s14, v12, s13
	s_lshl_b32 s13, 1, s13
	s_and_not1_b32 s8, s8, s13
	v_add_f64_e32 v[10:11], s[14:15], v[10:11]
	s_cmp_lg_u32 s8, 0
	s_cbranch_scc1 .LBB36_48
; %bb.49:
	v_mbcnt_lo_u32_b32 v12, exec_lo, 0
	s_delay_alu instid0(VALU_DEP_1) | instskip(SKIP_1) | instid1(SALU_CYCLE_1)
	v_cmp_eq_u32_e64 s8, 0, v12
	s_and_saveexec_b32 s13, s8
	s_xor_b32 s8, exec_lo, s13
	s_cbranch_execz .LBB36_51
; %bb.50:
	v_mov_b32_e32 v12, 0
	global_atomic_add_f64 v12, v[10:11], s[10:11] offset:8 scope:SCOPE_DEV
.LBB36_51:
	s_wait_xcnt 0x0
	s_or_b32 exec_lo, exec_lo, s8
.LBB36_52:
	s_and_not1_saveexec_b32 s8, s12
	s_cbranch_execz .LBB36_54
; %bb.53:
	v_mov_b32_e32 v10, 0
	ds_load_b128 v[10:13], v10 offset:4080
	s_wait_dscnt 0x0
	v_add_f64_e32 v[6:7], v[6:7], v[10:11]
	v_add_f64_e32 v[8:9], v[8:9], v[12:13]
.LBB36_54:
	s_or_b32 exec_lo, exec_lo, s8
.LBB36_55:
	s_delay_alu instid0(SALU_CYCLE_1)
	s_or_b32 exec_lo, exec_lo, s9
	s_wait_storecnt 0x0
	s_barrier_signal -1
	s_barrier_wait -1
	ds_store_b32 v1, v14
	ds_store_b128 v20, v[6:9]
	s_wait_dscnt 0x0
	s_barrier_signal -1
	s_barrier_wait -1
	s_and_saveexec_b32 s8, vcc_lo
	s_cbranch_execz .LBB36_59
; %bb.56:
	ds_load_b32 v10, v21
	s_mov_b32 s9, exec_lo
	s_wait_dscnt 0x0
	v_cmpx_eq_u32_e64 v14, v10
	s_cbranch_execz .LBB36_58
; %bb.57:
	v_add_nc_u32_e32 v10, -16, v20
	ds_load_b128 v[10:13], v10
	s_wait_dscnt 0x0
	v_add_f64_e32 v[6:7], v[6:7], v[10:11]
	v_add_f64_e32 v[8:9], v[8:9], v[12:13]
.LBB36_58:
	s_or_b32 exec_lo, exec_lo, s9
.LBB36_59:
	s_delay_alu instid0(SALU_CYCLE_1)
	s_or_b32 exec_lo, exec_lo, s8
	s_barrier_signal -1
	s_barrier_wait -1
	ds_store_b128 v20, v[6:9]
	s_wait_dscnt 0x0
	s_barrier_signal -1
	s_barrier_wait -1
	s_and_saveexec_b32 s8, s2
	s_cbranch_execz .LBB36_63
; %bb.60:
	ds_load_b32 v10, v22
	s_mov_b32 s2, exec_lo
	s_wait_dscnt 0x0
	v_cmpx_eq_u32_e64 v14, v10
	s_cbranch_execz .LBB36_62
; %bb.61:
	v_subrev_nc_u32_e32 v10, 32, v20
	ds_load_b128 v[10:13], v10
	s_wait_dscnt 0x0
	v_add_f64_e32 v[6:7], v[6:7], v[10:11]
	v_add_f64_e32 v[8:9], v[8:9], v[12:13]
.LBB36_62:
	s_or_b32 exec_lo, exec_lo, s2
.LBB36_63:
	s_delay_alu instid0(SALU_CYCLE_1)
	s_or_b32 exec_lo, exec_lo, s8
	s_barrier_signal -1
	s_barrier_wait -1
	ds_store_b128 v20, v[6:9]
	s_wait_dscnt 0x0
	s_barrier_signal -1
	s_barrier_wait -1
	s_and_saveexec_b32 s2, s3
	s_cbranch_execz .LBB36_67
; %bb.64:
	ds_load_b32 v10, v23
	s_mov_b32 s3, exec_lo
	s_wait_dscnt 0x0
	v_cmpx_eq_u32_e64 v14, v10
	s_cbranch_execz .LBB36_66
; %bb.65:
	v_subrev_nc_u32_e32 v10, 64, v20
	ds_load_b128 v[10:13], v10
	s_wait_dscnt 0x0
	v_add_f64_e32 v[6:7], v[6:7], v[10:11]
	v_add_f64_e32 v[8:9], v[8:9], v[12:13]
.LBB36_66:
	s_or_b32 exec_lo, exec_lo, s3
.LBB36_67:
	s_delay_alu instid0(SALU_CYCLE_1)
	s_or_b32 exec_lo, exec_lo, s2
	s_barrier_signal -1
	s_barrier_wait -1
	ds_store_b128 v20, v[6:9]
	s_wait_dscnt 0x0
	s_barrier_signal -1
	s_barrier_wait -1
	s_and_saveexec_b32 s2, s4
	s_cbranch_execz .LBB36_71
; %bb.68:
	ds_load_b32 v10, v24
	s_mov_b32 s3, exec_lo
	s_wait_dscnt 0x0
	v_cmpx_eq_u32_e64 v14, v10
	s_cbranch_execz .LBB36_70
; %bb.69:
	v_add_nc_u32_e32 v10, 0xffffff80, v20
	ds_load_b128 v[10:13], v10
	s_wait_dscnt 0x0
	v_add_f64_e32 v[6:7], v[6:7], v[10:11]
	v_add_f64_e32 v[8:9], v[8:9], v[12:13]
.LBB36_70:
	s_or_b32 exec_lo, exec_lo, s3
.LBB36_71:
	s_delay_alu instid0(SALU_CYCLE_1)
	s_or_b32 exec_lo, exec_lo, s2
	s_barrier_signal -1
	s_barrier_wait -1
	ds_store_b128 v20, v[6:9]
	s_wait_dscnt 0x0
	s_barrier_signal -1
	s_barrier_wait -1
	s_and_saveexec_b32 s2, s5
	s_cbranch_execz .LBB36_75
; %bb.72:
	ds_load_b32 v10, v25
	s_mov_b32 s3, exec_lo
	s_wait_dscnt 0x0
	v_cmpx_eq_u32_e64 v14, v10
	s_cbranch_execz .LBB36_74
; %bb.73:
	v_add_nc_u32_e32 v10, 0xffffff00, v20
	ds_load_b128 v[10:13], v10
	s_wait_dscnt 0x0
	v_add_f64_e32 v[6:7], v[6:7], v[10:11]
	v_add_f64_e32 v[8:9], v[8:9], v[12:13]
.LBB36_74:
	s_or_b32 exec_lo, exec_lo, s3
.LBB36_75:
	;; [unrolled: 25-line block ×5, first 2 shown]
	s_delay_alu instid0(SALU_CYCLE_1)
	s_or_b32 exec_lo, exec_lo, s2
	s_barrier_signal -1
	s_barrier_wait -1
	ds_store_b128 v20, v[6:9]
	s_wait_dscnt 0x0
	s_barrier_signal -1
	s_barrier_wait -1
	s_and_saveexec_b32 s2, s1
	s_cbranch_execz .LBB36_90
; %bb.88:
	ds_load_b32 v1, v1 offset:4
	v_cmp_lt_i32_e64 s0, -1, v14
	s_wait_dscnt 0x0
	v_cmp_ne_u32_e32 vcc_lo, v14, v1
	s_and_b32 s0, s0, vcc_lo
	s_delay_alu instid0(SALU_CYCLE_1)
	s_and_b32 exec_lo, exec_lo, s0
	s_cbranch_execz .LBB36_90
; %bb.89:
	v_dual_mul_f64 v[10:11], v[8:9], -v[4:5] :: v_dual_mov_b32 v15, 0
	v_mul_f64_e32 v[12:13], v[2:3], v[8:9]
	s_wait_kmcnt 0x0
	s_delay_alu instid0(VALU_DEP_2) | instskip(NEXT) | instid1(VALU_DEP_3)
	v_lshl_add_u64 v[16:17], v[14:15], 4, s[16:17]
	v_fmac_f64_e32 v[10:11], v[2:3], v[6:7]
	s_delay_alu instid0(VALU_DEP_3)
	v_fmac_f64_e32 v[12:13], v[4:5], v[6:7]
	global_atomic_add_f64 v[16:17], v[10:11], off scope:SCOPE_DEV
	s_wait_xcnt 0x0
	global_atomic_add_f64 v[16:17], v[12:13], off offset:8 scope:SCOPE_DEV
.LBB36_90:
	s_wait_xcnt 0x0
	s_or_b32 exec_lo, exec_lo, s2
	v_cmp_eq_u32_e32 vcc_lo, 0xff, v0
	v_cmp_lt_i32_e64 s0, -1, v14
	s_and_b32 s0, vcc_lo, s0
	s_delay_alu instid0(SALU_CYCLE_1)
	s_and_b32 exec_lo, exec_lo, s0
	s_cbranch_execz .LBB36_92
; %bb.91:
	v_dual_mul_f64 v[0:1], v[8:9], -v[4:5] :: v_dual_mov_b32 v15, 0
	v_mul_f64_e32 v[8:9], v[2:3], v[8:9]
	s_delay_alu instid0(VALU_DEP_2) | instskip(SKIP_1) | instid1(VALU_DEP_3)
	v_fmac_f64_e32 v[0:1], v[2:3], v[6:7]
	s_wait_kmcnt 0x0
	v_lshl_add_u64 v[2:3], v[14:15], 4, s[16:17]
	s_delay_alu instid0(VALU_DEP_3)
	v_fmac_f64_e32 v[8:9], v[4:5], v[6:7]
	global_atomic_add_f64 v[2:3], v[0:1], off scope:SCOPE_DEV
	s_wait_xcnt 0x0
	global_atomic_add_f64 v[2:3], v[8:9], off offset:8 scope:SCOPE_DEV
.LBB36_92:
	s_endpgm
	.section	.rodata,"a",@progbits
	.p2align	6, 0x0
	.amdhsa_kernel _ZN9rocsparseL19coomvn_atomic_loopsILj256ELj2Ei21rocsparse_complex_numIdES2_S2_S2_EEvlNS_24const_host_device_scalarIT5_EEPKT1_S8_PKT2_PKT3_PT4_21rocsparse_index_base_b
		.amdhsa_group_segment_fixed_size 5120
		.amdhsa_private_segment_fixed_size 0
		.amdhsa_kernarg_size 72
		.amdhsa_user_sgpr_count 2
		.amdhsa_user_sgpr_dispatch_ptr 0
		.amdhsa_user_sgpr_queue_ptr 0
		.amdhsa_user_sgpr_kernarg_segment_ptr 1
		.amdhsa_user_sgpr_dispatch_id 0
		.amdhsa_user_sgpr_kernarg_preload_length 0
		.amdhsa_user_sgpr_kernarg_preload_offset 0
		.amdhsa_user_sgpr_private_segment_size 0
		.amdhsa_wavefront_size32 1
		.amdhsa_uses_dynamic_stack 0
		.amdhsa_enable_private_segment 0
		.amdhsa_system_sgpr_workgroup_id_x 1
		.amdhsa_system_sgpr_workgroup_id_y 0
		.amdhsa_system_sgpr_workgroup_id_z 0
		.amdhsa_system_sgpr_workgroup_info 0
		.amdhsa_system_vgpr_workitem_id 0
		.amdhsa_next_free_vgpr 38
		.amdhsa_next_free_sgpr 26
		.amdhsa_named_barrier_count 0
		.amdhsa_reserve_vcc 1
		.amdhsa_float_round_mode_32 0
		.amdhsa_float_round_mode_16_64 0
		.amdhsa_float_denorm_mode_32 3
		.amdhsa_float_denorm_mode_16_64 3
		.amdhsa_fp16_overflow 0
		.amdhsa_memory_ordered 1
		.amdhsa_forward_progress 1
		.amdhsa_inst_pref_size 25
		.amdhsa_round_robin_scheduling 0
		.amdhsa_exception_fp_ieee_invalid_op 0
		.amdhsa_exception_fp_denorm_src 0
		.amdhsa_exception_fp_ieee_div_zero 0
		.amdhsa_exception_fp_ieee_overflow 0
		.amdhsa_exception_fp_ieee_underflow 0
		.amdhsa_exception_fp_ieee_inexact 0
		.amdhsa_exception_int_div_zero 0
	.end_amdhsa_kernel
	.section	.text._ZN9rocsparseL19coomvn_atomic_loopsILj256ELj2Ei21rocsparse_complex_numIdES2_S2_S2_EEvlNS_24const_host_device_scalarIT5_EEPKT1_S8_PKT2_PKT3_PT4_21rocsparse_index_base_b,"axG",@progbits,_ZN9rocsparseL19coomvn_atomic_loopsILj256ELj2Ei21rocsparse_complex_numIdES2_S2_S2_EEvlNS_24const_host_device_scalarIT5_EEPKT1_S8_PKT2_PKT3_PT4_21rocsparse_index_base_b,comdat
.Lfunc_end36:
	.size	_ZN9rocsparseL19coomvn_atomic_loopsILj256ELj2Ei21rocsparse_complex_numIdES2_S2_S2_EEvlNS_24const_host_device_scalarIT5_EEPKT1_S8_PKT2_PKT3_PT4_21rocsparse_index_base_b, .Lfunc_end36-_ZN9rocsparseL19coomvn_atomic_loopsILj256ELj2Ei21rocsparse_complex_numIdES2_S2_S2_EEvlNS_24const_host_device_scalarIT5_EEPKT1_S8_PKT2_PKT3_PT4_21rocsparse_index_base_b
                                        ; -- End function
	.set _ZN9rocsparseL19coomvn_atomic_loopsILj256ELj2Ei21rocsparse_complex_numIdES2_S2_S2_EEvlNS_24const_host_device_scalarIT5_EEPKT1_S8_PKT2_PKT3_PT4_21rocsparse_index_base_b.num_vgpr, 38
	.set _ZN9rocsparseL19coomvn_atomic_loopsILj256ELj2Ei21rocsparse_complex_numIdES2_S2_S2_EEvlNS_24const_host_device_scalarIT5_EEPKT1_S8_PKT2_PKT3_PT4_21rocsparse_index_base_b.num_agpr, 0
	.set _ZN9rocsparseL19coomvn_atomic_loopsILj256ELj2Ei21rocsparse_complex_numIdES2_S2_S2_EEvlNS_24const_host_device_scalarIT5_EEPKT1_S8_PKT2_PKT3_PT4_21rocsparse_index_base_b.numbered_sgpr, 26
	.set _ZN9rocsparseL19coomvn_atomic_loopsILj256ELj2Ei21rocsparse_complex_numIdES2_S2_S2_EEvlNS_24const_host_device_scalarIT5_EEPKT1_S8_PKT2_PKT3_PT4_21rocsparse_index_base_b.num_named_barrier, 0
	.set _ZN9rocsparseL19coomvn_atomic_loopsILj256ELj2Ei21rocsparse_complex_numIdES2_S2_S2_EEvlNS_24const_host_device_scalarIT5_EEPKT1_S8_PKT2_PKT3_PT4_21rocsparse_index_base_b.private_seg_size, 0
	.set _ZN9rocsparseL19coomvn_atomic_loopsILj256ELj2Ei21rocsparse_complex_numIdES2_S2_S2_EEvlNS_24const_host_device_scalarIT5_EEPKT1_S8_PKT2_PKT3_PT4_21rocsparse_index_base_b.uses_vcc, 1
	.set _ZN9rocsparseL19coomvn_atomic_loopsILj256ELj2Ei21rocsparse_complex_numIdES2_S2_S2_EEvlNS_24const_host_device_scalarIT5_EEPKT1_S8_PKT2_PKT3_PT4_21rocsparse_index_base_b.uses_flat_scratch, 0
	.set _ZN9rocsparseL19coomvn_atomic_loopsILj256ELj2Ei21rocsparse_complex_numIdES2_S2_S2_EEvlNS_24const_host_device_scalarIT5_EEPKT1_S8_PKT2_PKT3_PT4_21rocsparse_index_base_b.has_dyn_sized_stack, 0
	.set _ZN9rocsparseL19coomvn_atomic_loopsILj256ELj2Ei21rocsparse_complex_numIdES2_S2_S2_EEvlNS_24const_host_device_scalarIT5_EEPKT1_S8_PKT2_PKT3_PT4_21rocsparse_index_base_b.has_recursion, 0
	.set _ZN9rocsparseL19coomvn_atomic_loopsILj256ELj2Ei21rocsparse_complex_numIdES2_S2_S2_EEvlNS_24const_host_device_scalarIT5_EEPKT1_S8_PKT2_PKT3_PT4_21rocsparse_index_base_b.has_indirect_call, 0
	.section	.AMDGPU.csdata,"",@progbits
; Kernel info:
; codeLenInByte = 3096
; TotalNumSgprs: 28
; NumVgprs: 38
; ScratchSize: 0
; MemoryBound: 0
; FloatMode: 240
; IeeeMode: 1
; LDSByteSize: 5120 bytes/workgroup (compile time only)
; SGPRBlocks: 0
; VGPRBlocks: 2
; NumSGPRsForWavesPerEU: 28
; NumVGPRsForWavesPerEU: 38
; NamedBarCnt: 0
; Occupancy: 16
; WaveLimiterHint : 1
; COMPUTE_PGM_RSRC2:SCRATCH_EN: 0
; COMPUTE_PGM_RSRC2:USER_SGPR: 2
; COMPUTE_PGM_RSRC2:TRAP_HANDLER: 0
; COMPUTE_PGM_RSRC2:TGID_X_EN: 1
; COMPUTE_PGM_RSRC2:TGID_Y_EN: 0
; COMPUTE_PGM_RSRC2:TGID_Z_EN: 0
; COMPUTE_PGM_RSRC2:TIDIG_COMP_CNT: 0
	.section	.text._ZN9rocsparseL22coomvn_segmented_loopsILj256El21rocsparse_complex_numIdES2_S2_S2_EEvlT0_NS_24const_host_device_scalarIT4_EEPKS3_S8_PKT1_PKT2_PT3_PS3_PS5_21rocsparse_index_base_b,"axG",@progbits,_ZN9rocsparseL22coomvn_segmented_loopsILj256El21rocsparse_complex_numIdES2_S2_S2_EEvlT0_NS_24const_host_device_scalarIT4_EEPKS3_S8_PKT1_PKT2_PT3_PS3_PS5_21rocsparse_index_base_b,comdat
	.globl	_ZN9rocsparseL22coomvn_segmented_loopsILj256El21rocsparse_complex_numIdES2_S2_S2_EEvlT0_NS_24const_host_device_scalarIT4_EEPKS3_S8_PKT1_PKT2_PT3_PS3_PS5_21rocsparse_index_base_b ; -- Begin function _ZN9rocsparseL22coomvn_segmented_loopsILj256El21rocsparse_complex_numIdES2_S2_S2_EEvlT0_NS_24const_host_device_scalarIT4_EEPKS3_S8_PKT1_PKT2_PT3_PS3_PS5_21rocsparse_index_base_b
	.p2align	8
	.type	_ZN9rocsparseL22coomvn_segmented_loopsILj256El21rocsparse_complex_numIdES2_S2_S2_EEvlT0_NS_24const_host_device_scalarIT4_EEPKS3_S8_PKT1_PKT2_PT3_PS3_PS5_21rocsparse_index_base_b,@function
_ZN9rocsparseL22coomvn_segmented_loopsILj256El21rocsparse_complex_numIdES2_S2_S2_EEvlT0_NS_24const_host_device_scalarIT4_EEPKS3_S8_PKT1_PKT2_PT3_PS3_PS5_21rocsparse_index_base_b: ; @_ZN9rocsparseL22coomvn_segmented_loopsILj256El21rocsparse_complex_numIdES2_S2_S2_EEvlT0_NS_24const_host_device_scalarIT4_EEPKS3_S8_PKT1_PKT2_PT3_PS3_PS5_21rocsparse_index_base_b
; %bb.0:
	s_clause 0x1
	s_load_b64 s[14:15], s[0:1], 0x58
	s_load_b64 s[2:3], s[0:1], 0x10
	v_mov_b32_e32 v1, 0
	s_add_nc_u64 s[4:5], s[0:1], 16
	s_wait_kmcnt 0x0
	s_bitcmp1_b32 s15, 0
	s_cselect_b32 s3, s5, s3
	s_cselect_b32 s2, s4, s2
	flat_load_b128 v[2:5], v1, s[2:3]
	s_wait_loadcnt_dscnt 0x0
	v_cmp_neq_f64_e32 vcc_lo, 0, v[2:3]
	v_cmp_neq_f64_e64 s2, 0, v[4:5]
	s_or_b32 s2, vcc_lo, s2
	s_delay_alu instid0(SALU_CYCLE_1)
	s_and_saveexec_b32 s3, s2
	s_cbranch_execz .LBB37_87
; %bb.1:
	s_load_b128 s[24:27], s[0:1], 0x0
	s_bfe_u32 s2, ttmp6, 0x4000c
	s_load_b256 s[16:23], s[0:1], 0x20
	s_add_co_i32 s2, s2, 1
	s_and_b32 s3, ttmp6, 15
	s_mul_i32 s2, ttmp9, s2
	s_getreg_b32 s4, hwreg(HW_REG_IB_STS2, 6, 4)
	s_add_co_i32 s3, s3, s2
	v_mov_b64_e32 v[6:7], 0
	s_cmp_eq_u32 s4, 0
	s_mov_b32 s29, 0
	s_cselect_b32 s28, ttmp9, s3
	v_mov_b64_e32 v[12:13], -1
	s_delay_alu instid0(VALU_DEP_2) | instskip(SKIP_2) | instid1(SALU_CYCLE_1)
	v_mov_b64_e32 v[8:9], v[6:7]
	s_wait_kmcnt 0x0
	s_mul_u64 s[34:35], s[28:29], s[26:27]
	s_lshl_b64 s[2:3], s[34:35], 8
	s_delay_alu instid0(SALU_CYCLE_1) | instskip(SKIP_1) | instid1(VALU_DEP_1)
	v_dual_mov_b32 v15, s3 :: v_dual_bitop2_b32 v14, s2, v0 bitop3:0x54
	s_mov_b32 s2, exec_lo
	v_cmpx_gt_i64_e64 s[24:25], v[14:15]
	s_cbranch_execz .LBB37_3
; %bb.2:
	v_lshlrev_b64_e32 v[6:7], 3, v[14:15]
	s_mov_b32 s15, s29
	s_delay_alu instid0(VALU_DEP_1)
	v_add_nc_u64_e32 v[8:9], s[16:17], v[6:7]
	v_add_nc_u64_e32 v[6:7], s[18:19], v[6:7]
	global_load_b64 v[10:11], v[8:9], off th:TH_LOAD_NT
	global_load_b64 v[16:17], v[6:7], off th:TH_LOAD_NT
	s_wait_xcnt 0x1
	v_lshl_add_u64 v[8:9], v[14:15], 4, s[20:21]
	s_wait_loadcnt 0x1
	v_sub_nc_u64_e64 v[12:13], v[10:11], s[14:15]
	s_wait_loadcnt 0x0
	v_lshl_add_u64 v[6:7], v[16:17], 4, s[22:23]
	s_ashr_i32 s15, s14, 31
	s_delay_alu instid0(SALU_CYCLE_1)
	s_lshl_b64 s[4:5], s[14:15], 4
	s_delay_alu instid0(VALU_DEP_1) | instid1(SALU_CYCLE_1)
	v_sub_nc_u64_e64 v[6:7], v[6:7], s[4:5]
	global_load_b128 v[16:19], v[8:9], off th:TH_LOAD_NT
	global_load_b128 v[20:23], v[6:7], off
	s_wait_loadcnt 0x0
	v_mul_f64_e64 v[6:7], v[22:23], -v[18:19]
	v_mul_f64_e32 v[8:9], v[16:17], v[22:23]
	s_delay_alu instid0(VALU_DEP_2) | instskip(NEXT) | instid1(VALU_DEP_2)
	v_fmac_f64_e32 v[6:7], v[16:17], v[20:21]
	v_fmac_f64_e32 v[8:9], v[18:19], v[20:21]
.LBB37_3:
	s_or_b32 exec_lo, exec_lo, s2
	v_dual_lshlrev_b32 v11, 3, v0 :: v_dual_lshlrev_b32 v10, 4, v0
	v_cmp_eq_u32_e64 s2, 0, v0
	v_cmp_ne_u32_e64 s3, 0, v0
	ds_store_b64 v11, v[12:13] offset:4096
	ds_store_b128 v10, v[6:9]
	v_or_b32_e32 v1, 0x1000, v11
	s_wait_dscnt 0x0
	s_barrier_signal -1
	s_barrier_wait -1
	s_delay_alu instid0(VALU_DEP_1)
	v_add_nc_u32_e32 v24, -8, v1
	s_and_saveexec_b32 s4, s3
	s_cbranch_execz .LBB37_7
; %bb.4:
	ds_load_b64 v[16:17], v24
	s_mov_b32 s5, exec_lo
	s_wait_dscnt 0x0
	v_cmpx_eq_u64_e64 v[12:13], v[16:17]
	s_cbranch_execz .LBB37_6
; %bb.5:
	v_add_nc_u32_e32 v11, -16, v10
	ds_load_b128 v[16:19], v11
	s_wait_dscnt 0x0
	v_add_f64_e32 v[6:7], v[6:7], v[16:17]
	v_add_f64_e32 v[8:9], v[8:9], v[18:19]
.LBB37_6:
	s_or_b32 exec_lo, exec_lo, s5
.LBB37_7:
	s_delay_alu instid0(SALU_CYCLE_1)
	s_or_b32 exec_lo, exec_lo, s4
	v_cmp_lt_u32_e64 s4, 1, v0
	v_add_nc_u32_e32 v25, -16, v1
	s_barrier_signal -1
	s_barrier_wait -1
	ds_store_b128 v10, v[6:9]
	s_wait_dscnt 0x0
	s_barrier_signal -1
	s_barrier_wait -1
	s_and_saveexec_b32 s5, s4
	s_cbranch_execz .LBB37_11
; %bb.8:
	ds_load_b64 v[16:17], v25
	s_mov_b32 s6, exec_lo
	s_wait_dscnt 0x0
	v_cmpx_eq_u64_e64 v[12:13], v[16:17]
	s_cbranch_execz .LBB37_10
; %bb.9:
	v_subrev_nc_u32_e32 v11, 32, v10
	ds_load_b128 v[16:19], v11
	s_wait_dscnt 0x0
	v_add_f64_e32 v[6:7], v[6:7], v[16:17]
	v_add_f64_e32 v[8:9], v[8:9], v[18:19]
.LBB37_10:
	s_or_b32 exec_lo, exec_lo, s6
.LBB37_11:
	s_delay_alu instid0(SALU_CYCLE_1)
	s_or_b32 exec_lo, exec_lo, s5
	v_cmp_lt_u32_e64 s5, 3, v0
	v_subrev_nc_u32_e32 v26, 32, v1
	s_barrier_signal -1
	s_barrier_wait -1
	ds_store_b128 v10, v[6:9]
	s_wait_dscnt 0x0
	s_barrier_signal -1
	s_barrier_wait -1
	s_and_saveexec_b32 s6, s5
	s_cbranch_execz .LBB37_15
; %bb.12:
	ds_load_b64 v[16:17], v26
	s_mov_b32 s7, exec_lo
	s_wait_dscnt 0x0
	v_cmpx_eq_u64_e64 v[12:13], v[16:17]
	s_cbranch_execz .LBB37_14
; %bb.13:
	v_subrev_nc_u32_e32 v11, 64, v10
	ds_load_b128 v[16:19], v11
	s_wait_dscnt 0x0
	v_add_f64_e32 v[6:7], v[6:7], v[16:17]
	v_add_f64_e32 v[8:9], v[8:9], v[18:19]
.LBB37_14:
	s_or_b32 exec_lo, exec_lo, s7
.LBB37_15:
	s_delay_alu instid0(SALU_CYCLE_1)
	s_or_b32 exec_lo, exec_lo, s6
	v_cmp_lt_u32_e64 s6, 7, v0
	v_subrev_nc_u32_e32 v27, 64, v1
	s_barrier_signal -1
	s_barrier_wait -1
	ds_store_b128 v10, v[6:9]
	s_wait_dscnt 0x0
	s_barrier_signal -1
	s_barrier_wait -1
	s_and_saveexec_b32 s7, s6
	s_cbranch_execz .LBB37_19
; %bb.16:
	ds_load_b64 v[16:17], v27
	s_mov_b32 s8, exec_lo
	s_wait_dscnt 0x0
	v_cmpx_eq_u64_e64 v[12:13], v[16:17]
	s_cbranch_execz .LBB37_18
; %bb.17:
	v_add_nc_u32_e32 v11, 0xffffff80, v10
	ds_load_b128 v[16:19], v11
	s_wait_dscnt 0x0
	v_add_f64_e32 v[6:7], v[6:7], v[16:17]
	v_add_f64_e32 v[8:9], v[8:9], v[18:19]
.LBB37_18:
	s_or_b32 exec_lo, exec_lo, s8
.LBB37_19:
	s_delay_alu instid0(SALU_CYCLE_1)
	s_or_b32 exec_lo, exec_lo, s7
	v_cmp_lt_u32_e64 s7, 15, v0
	v_add_nc_u32_e32 v28, 0xffffff80, v1
	s_barrier_signal -1
	s_barrier_wait -1
	ds_store_b128 v10, v[6:9]
	s_wait_dscnt 0x0
	s_barrier_signal -1
	s_barrier_wait -1
	s_and_saveexec_b32 s8, s7
	s_cbranch_execz .LBB37_23
; %bb.20:
	ds_load_b64 v[16:17], v28
	s_mov_b32 s9, exec_lo
	s_wait_dscnt 0x0
	v_cmpx_eq_u64_e64 v[12:13], v[16:17]
	s_cbranch_execz .LBB37_22
; %bb.21:
	v_add_nc_u32_e32 v11, 0xffffff00, v10
	ds_load_b128 v[16:19], v11
	s_wait_dscnt 0x0
	v_add_f64_e32 v[6:7], v[6:7], v[16:17]
	v_add_f64_e32 v[8:9], v[8:9], v[18:19]
.LBB37_22:
	s_or_b32 exec_lo, exec_lo, s9
.LBB37_23:
	s_delay_alu instid0(SALU_CYCLE_1)
	s_or_b32 exec_lo, exec_lo, s8
	v_cmp_lt_u32_e64 s8, 31, v0
	v_add_nc_u32_e32 v29, 0xffffff00, v1
	;; [unrolled: 27-line block ×4, first 2 shown]
	s_barrier_signal -1
	s_barrier_wait -1
	ds_store_b128 v10, v[6:9]
	s_wait_dscnt 0x0
	s_barrier_signal -1
	s_barrier_wait -1
	s_and_saveexec_b32 s11, s10
	s_cbranch_execz .LBB37_35
; %bb.32:
	ds_load_b64 v[16:17], v31
	s_mov_b32 s12, exec_lo
	s_wait_dscnt 0x0
	v_cmpx_eq_u64_e64 v[12:13], v[16:17]
	s_cbranch_execz .LBB37_34
; %bb.33:
	v_add_nc_u32_e32 v11, 0xfffff800, v10
	ds_load_b128 v[16:19], v11
	s_wait_dscnt 0x0
	v_add_f64_e32 v[6:7], v[6:7], v[16:17]
	v_add_f64_e32 v[8:9], v[8:9], v[18:19]
.LBB37_34:
	s_or_b32 exec_lo, exec_lo, s12
.LBB37_35:
	s_delay_alu instid0(SALU_CYCLE_1)
	s_or_b32 exec_lo, exec_lo, s11
	s_load_b64 s[30:31], s[0:1], 0x40
	v_cmp_gt_u32_e64 s11, 0xff, v0
	s_barrier_signal -1
	s_barrier_wait -1
	ds_store_b128 v10, v[6:9]
	s_wait_dscnt 0x0
	s_barrier_signal -1
	s_barrier_wait -1
	s_and_saveexec_b32 s13, s11
	s_cbranch_execz .LBB37_38
; %bb.36:
	ds_load_b64 v[16:17], v1 offset:8
	v_cmp_lt_i64_e64 s12, -1, v[12:13]
	s_wait_dscnt 0x0
	v_cmp_ne_u64_e32 vcc_lo, v[12:13], v[16:17]
	s_and_b32 s12, s12, vcc_lo
	s_delay_alu instid0(SALU_CYCLE_1)
	s_and_b32 exec_lo, exec_lo, s12
	s_cbranch_execz .LBB37_38
; %bb.37:
	s_wait_kmcnt 0x0
	v_lshl_add_u64 v[20:21], v[12:13], 4, s[30:31]
	global_load_b128 v[16:19], v[20:21], off
	s_wait_loadcnt 0x0
	v_fmac_f64_e32 v[16:17], v[2:3], v[6:7]
	v_fmac_f64_e32 v[18:19], v[4:5], v[6:7]
	s_delay_alu instid0(VALU_DEP_2) | instskip(NEXT) | instid1(VALU_DEP_2)
	v_fma_f64 v[16:17], -v[4:5], v[8:9], v[16:17]
	v_fmac_f64_e32 v[18:19], v[2:3], v[8:9]
	global_store_b128 v[20:21], v[16:19], off
.LBB37_38:
	s_wait_xcnt 0x0
	s_or_b32 exec_lo, exec_lo, s13
	v_cmp_lt_i64_e64 s12, s[26:27], 2
	s_and_b32 vcc_lo, exec_lo, s12
	s_cbranch_vccnz .LBB37_85
; %bb.39:
	s_lshl_b64 s[36:37], s[34:35], 11
	s_lshl_b64 s[34:35], s[34:35], 12
	v_lshl_or_b32 v6, v0, 3, s36
	v_dual_mov_b32 v7, s37 :: v_dual_mov_b32 v11, 0
	s_add_nc_u64 s[20:21], s[20:21], s[34:35]
	v_add_nc_u64_e32 v[14:15], 0x100, v[14:15]
	s_ashr_i32 s13, s14, 31
	s_delay_alu instid0(VALU_DEP_2)
	v_add_nc_u64_e32 v[6:7], 0x800, v[6:7]
	v_add_nc_u64_e32 v[8:9], s[20:21], v[10:11]
	s_mov_b32 s12, s14
	v_add_nc_u32_e32 v32, -16, v10
	v_subrev_nc_u32_e32 v33, 32, v10
	v_subrev_nc_u32_e32 v34, 64, v10
	v_add_nc_u32_e32 v35, 0xffffff80, v10
	v_add_nc_u64_e32 v[16:17], s[18:19], v[6:7]
	v_add_nc_u64_e32 v[18:19], 0x1000, v[8:9]
	;; [unrolled: 1-line block ×3, first 2 shown]
	v_add_nc_u32_e32 v36, 0xffffff00, v10
	v_add_nc_u32_e32 v37, 0xfffffe00, v10
	;; [unrolled: 1-line block ×4, first 2 shown]
	s_lshl_b64 s[12:13], s[12:13], 4
	s_add_nc_u64 s[26:27], s[26:27], -1
	s_mov_b32 s15, 0
	s_sub_nc_u64 s[16:17], s[22:23], s[12:13]
	s_mov_b64 s[18:19], 0
	s_branch .LBB37_41
.LBB37_40:                              ;   in Loop: Header=BB37_41 Depth=1
	s_wait_xcnt 0x0
	s_or_b32 exec_lo, exec_lo, s13
	s_add_nc_u64 s[18:19], s[18:19], 1
	v_add_nc_u64_e32 v[16:17], 0x800, v[16:17]
	v_cmp_le_u64_e64 s12, s[26:27], s[18:19]
	v_add_nc_u64_e32 v[18:19], 0x1000, v[18:19]
	v_add_nc_u64_e32 v[20:21], 0x800, v[20:21]
	;; [unrolled: 1-line block ×3, first 2 shown]
	s_and_b32 vcc_lo, exec_lo, s12
	s_cbranch_vccnz .LBB37_85
.LBB37_41:                              ; =>This Inner Loop Header: Depth=1
	v_mov_b64_e32 v[12:13], -1
	v_mov_b64_e32 v[6:7], 0
	v_mov_b64_e32 v[8:9], 0
	s_mov_b32 s12, exec_lo
	v_cmpx_gt_i64_e64 s[24:25], v[14:15]
	s_cbranch_execz .LBB37_43
; %bb.42:                               ;   in Loop: Header=BB37_41 Depth=1
	global_load_b64 v[6:7], v[16:17], off th:TH_LOAD_NT
	s_wait_loadcnt 0x0
	v_lshl_add_u64 v[6:7], v[6:7], 4, s[16:17]
	global_load_b128 v[40:43], v[18:19], off th:TH_LOAD_NT
	global_load_b128 v[44:47], v[6:7], off
	global_load_b64 v[12:13], v[20:21], off th:TH_LOAD_NT
	s_wait_loadcnt 0x1
	s_wait_xcnt 0x1
	v_mul_f64_e64 v[6:7], v[46:47], -v[42:43]
	v_mul_f64_e32 v[8:9], v[40:41], v[46:47]
	s_wait_loadcnt 0x0
	v_sub_nc_u64_e64 v[12:13], v[12:13], s[14:15]
	s_delay_alu instid0(VALU_DEP_3) | instskip(NEXT) | instid1(VALU_DEP_3)
	v_fmac_f64_e32 v[6:7], v[40:41], v[44:45]
	v_fmac_f64_e32 v[8:9], v[42:43], v[44:45]
.LBB37_43:                              ;   in Loop: Header=BB37_41 Depth=1
	s_wait_xcnt 0x0
	s_or_b32 exec_lo, exec_lo, s12
	s_and_saveexec_b32 s12, s2
	s_cbranch_execz .LBB37_50
; %bb.44:                               ;   in Loop: Header=BB37_41 Depth=1
	ds_load_b64 v[22:23], v11 offset:6136
	s_mov_b32 s13, exec_lo
	s_wait_dscnt 0x0
	v_cmpx_ne_u64_e64 v[12:13], v[22:23]
	s_xor_b32 s13, exec_lo, s13
	s_cbranch_execz .LBB37_47
; %bb.45:                               ;   in Loop: Header=BB37_41 Depth=1
	v_cmp_gt_i64_e32 vcc_lo, 0, v[22:23]
	s_cbranch_vccnz .LBB37_47
; %bb.46:                               ;   in Loop: Header=BB37_41 Depth=1
	v_lshlrev_b64_e32 v[22:23], 4, v[22:23]
	ds_load_b128 v[44:47], v11 offset:4080
	s_wait_kmcnt 0x0
	v_add_nc_u64_e32 v[22:23], s[30:31], v[22:23]
	global_load_b128 v[40:43], v[22:23], off
	s_wait_loadcnt_dscnt 0x0
	v_fmac_f64_e32 v[40:41], v[2:3], v[44:45]
	v_fmac_f64_e32 v[42:43], v[4:5], v[44:45]
	s_delay_alu instid0(VALU_DEP_2) | instskip(NEXT) | instid1(VALU_DEP_2)
	v_fma_f64 v[40:41], -v[4:5], v[46:47], v[40:41]
	v_fmac_f64_e32 v[42:43], v[2:3], v[46:47]
	global_store_b128 v[22:23], v[40:43], off
.LBB37_47:                              ;   in Loop: Header=BB37_41 Depth=1
	s_wait_xcnt 0x0
	s_and_not1_saveexec_b32 s13, s13
	s_cbranch_execz .LBB37_49
; %bb.48:                               ;   in Loop: Header=BB37_41 Depth=1
	ds_load_b128 v[40:43], v11 offset:4080
	s_wait_dscnt 0x0
	v_add_f64_e32 v[6:7], v[6:7], v[40:41]
	v_add_f64_e32 v[8:9], v[8:9], v[42:43]
.LBB37_49:                              ;   in Loop: Header=BB37_41 Depth=1
	s_or_b32 exec_lo, exec_lo, s13
.LBB37_50:                              ;   in Loop: Header=BB37_41 Depth=1
	s_delay_alu instid0(SALU_CYCLE_1)
	s_or_b32 exec_lo, exec_lo, s12
	s_wait_storecnt 0x0
	s_barrier_signal -1
	s_barrier_wait -1
	ds_store_b64 v1, v[12:13]
	ds_store_b128 v10, v[6:9]
	s_wait_dscnt 0x0
	s_barrier_signal -1
	s_barrier_wait -1
	s_and_saveexec_b32 s12, s3
	s_cbranch_execz .LBB37_54
; %bb.51:                               ;   in Loop: Header=BB37_41 Depth=1
	ds_load_b64 v[22:23], v24
	s_mov_b32 s13, exec_lo
	s_wait_dscnt 0x0
	v_cmpx_eq_u64_e64 v[12:13], v[22:23]
	s_cbranch_execz .LBB37_53
; %bb.52:                               ;   in Loop: Header=BB37_41 Depth=1
	ds_load_b128 v[40:43], v32
	s_wait_dscnt 0x0
	v_add_f64_e32 v[6:7], v[6:7], v[40:41]
	v_add_f64_e32 v[8:9], v[8:9], v[42:43]
.LBB37_53:                              ;   in Loop: Header=BB37_41 Depth=1
	s_or_b32 exec_lo, exec_lo, s13
.LBB37_54:                              ;   in Loop: Header=BB37_41 Depth=1
	s_delay_alu instid0(SALU_CYCLE_1)
	s_or_b32 exec_lo, exec_lo, s12
	s_barrier_signal -1
	s_barrier_wait -1
	ds_store_b128 v10, v[6:9]
	s_wait_dscnt 0x0
	s_barrier_signal -1
	s_barrier_wait -1
	s_and_saveexec_b32 s12, s4
	s_cbranch_execz .LBB37_58
; %bb.55:                               ;   in Loop: Header=BB37_41 Depth=1
	ds_load_b64 v[22:23], v25
	s_mov_b32 s13, exec_lo
	s_wait_dscnt 0x0
	v_cmpx_eq_u64_e64 v[12:13], v[22:23]
	s_cbranch_execz .LBB37_57
; %bb.56:                               ;   in Loop: Header=BB37_41 Depth=1
	ds_load_b128 v[40:43], v33
	s_wait_dscnt 0x0
	v_add_f64_e32 v[6:7], v[6:7], v[40:41]
	v_add_f64_e32 v[8:9], v[8:9], v[42:43]
.LBB37_57:                              ;   in Loop: Header=BB37_41 Depth=1
	s_or_b32 exec_lo, exec_lo, s13
.LBB37_58:                              ;   in Loop: Header=BB37_41 Depth=1
	s_delay_alu instid0(SALU_CYCLE_1)
	s_or_b32 exec_lo, exec_lo, s12
	s_barrier_signal -1
	s_barrier_wait -1
	;; [unrolled: 24-line block ×8, first 2 shown]
	ds_store_b128 v10, v[6:9]
	s_wait_dscnt 0x0
	s_barrier_signal -1
	s_barrier_wait -1
	s_and_saveexec_b32 s13, s11
	s_cbranch_execz .LBB37_40
; %bb.83:                               ;   in Loop: Header=BB37_41 Depth=1
	ds_load_b64 v[22:23], v1 offset:8
	v_cmp_lt_i64_e64 s12, -1, v[12:13]
	s_wait_dscnt 0x0
	v_cmp_ne_u64_e32 vcc_lo, v[12:13], v[22:23]
	s_and_b32 s12, s12, vcc_lo
	s_delay_alu instid0(SALU_CYCLE_1)
	s_and_b32 exec_lo, exec_lo, s12
	s_cbranch_execz .LBB37_40
; %bb.84:                               ;   in Loop: Header=BB37_41 Depth=1
	s_wait_kmcnt 0x0
	v_lshl_add_u64 v[22:23], v[12:13], 4, s[30:31]
	global_load_b128 v[40:43], v[22:23], off
	s_wait_loadcnt 0x0
	v_fmac_f64_e32 v[40:41], v[2:3], v[6:7]
	v_fmac_f64_e32 v[42:43], v[4:5], v[6:7]
	s_delay_alu instid0(VALU_DEP_2) | instskip(NEXT) | instid1(VALU_DEP_2)
	v_fma_f64 v[40:41], -v[4:5], v[8:9], v[40:41]
	v_fmac_f64_e32 v[42:43], v[2:3], v[8:9]
	global_store_b128 v[22:23], v[40:43], off
	s_branch .LBB37_40
.LBB37_85:
	s_load_b128 s[0:3], s[0:1], 0x48
	v_cmp_eq_u32_e32 vcc_lo, 0xff, v0
	s_and_b32 exec_lo, exec_lo, vcc_lo
	s_cbranch_execz .LBB37_87
; %bb.86:
	v_dual_mul_f64 v[14:15], v[8:9], -v[4:5] :: v_dual_mov_b32 v0, 0
	v_mul_f64_e32 v[16:17], v[2:3], v[8:9]
	s_lshl_b64 s[4:5], s[28:29], 3
	s_lshl_b64 s[6:7], s[28:29], 4
	s_wait_kmcnt 0x0
	s_add_nc_u64 s[0:1], s[0:1], s[4:5]
	s_add_nc_u64 s[2:3], s[2:3], s[6:7]
	s_delay_alu instid0(VALU_DEP_2) | instskip(NEXT) | instid1(VALU_DEP_2)
	v_fmac_f64_e32 v[14:15], v[2:3], v[6:7]
	v_fmac_f64_e32 v[16:17], v[4:5], v[6:7]
	s_clause 0x1
	global_store_b64 v0, v[12:13], s[0:1] th:TH_STORE_NT
	global_store_b128 v0, v[14:17], s[2:3] th:TH_STORE_NT
.LBB37_87:
	s_endpgm
	.section	.rodata,"a",@progbits
	.p2align	6, 0x0
	.amdhsa_kernel _ZN9rocsparseL22coomvn_segmented_loopsILj256El21rocsparse_complex_numIdES2_S2_S2_EEvlT0_NS_24const_host_device_scalarIT4_EEPKS3_S8_PKT1_PKT2_PT3_PS3_PS5_21rocsparse_index_base_b
		.amdhsa_group_segment_fixed_size 6144
		.amdhsa_private_segment_fixed_size 0
		.amdhsa_kernarg_size 96
		.amdhsa_user_sgpr_count 2
		.amdhsa_user_sgpr_dispatch_ptr 0
		.amdhsa_user_sgpr_queue_ptr 0
		.amdhsa_user_sgpr_kernarg_segment_ptr 1
		.amdhsa_user_sgpr_dispatch_id 0
		.amdhsa_user_sgpr_kernarg_preload_length 0
		.amdhsa_user_sgpr_kernarg_preload_offset 0
		.amdhsa_user_sgpr_private_segment_size 0
		.amdhsa_wavefront_size32 1
		.amdhsa_uses_dynamic_stack 0
		.amdhsa_enable_private_segment 0
		.amdhsa_system_sgpr_workgroup_id_x 1
		.amdhsa_system_sgpr_workgroup_id_y 0
		.amdhsa_system_sgpr_workgroup_id_z 0
		.amdhsa_system_sgpr_workgroup_info 0
		.amdhsa_system_vgpr_workitem_id 0
		.amdhsa_next_free_vgpr 48
		.amdhsa_next_free_sgpr 38
		.amdhsa_named_barrier_count 0
		.amdhsa_reserve_vcc 1
		.amdhsa_float_round_mode_32 0
		.amdhsa_float_round_mode_16_64 0
		.amdhsa_float_denorm_mode_32 3
		.amdhsa_float_denorm_mode_16_64 3
		.amdhsa_fp16_overflow 0
		.amdhsa_memory_ordered 1
		.amdhsa_forward_progress 1
		.amdhsa_inst_pref_size 24
		.amdhsa_round_robin_scheduling 0
		.amdhsa_exception_fp_ieee_invalid_op 0
		.amdhsa_exception_fp_denorm_src 0
		.amdhsa_exception_fp_ieee_div_zero 0
		.amdhsa_exception_fp_ieee_overflow 0
		.amdhsa_exception_fp_ieee_underflow 0
		.amdhsa_exception_fp_ieee_inexact 0
		.amdhsa_exception_int_div_zero 0
	.end_amdhsa_kernel
	.section	.text._ZN9rocsparseL22coomvn_segmented_loopsILj256El21rocsparse_complex_numIdES2_S2_S2_EEvlT0_NS_24const_host_device_scalarIT4_EEPKS3_S8_PKT1_PKT2_PT3_PS3_PS5_21rocsparse_index_base_b,"axG",@progbits,_ZN9rocsparseL22coomvn_segmented_loopsILj256El21rocsparse_complex_numIdES2_S2_S2_EEvlT0_NS_24const_host_device_scalarIT4_EEPKS3_S8_PKT1_PKT2_PT3_PS3_PS5_21rocsparse_index_base_b,comdat
.Lfunc_end37:
	.size	_ZN9rocsparseL22coomvn_segmented_loopsILj256El21rocsparse_complex_numIdES2_S2_S2_EEvlT0_NS_24const_host_device_scalarIT4_EEPKS3_S8_PKT1_PKT2_PT3_PS3_PS5_21rocsparse_index_base_b, .Lfunc_end37-_ZN9rocsparseL22coomvn_segmented_loopsILj256El21rocsparse_complex_numIdES2_S2_S2_EEvlT0_NS_24const_host_device_scalarIT4_EEPKS3_S8_PKT1_PKT2_PT3_PS3_PS5_21rocsparse_index_base_b
                                        ; -- End function
	.set _ZN9rocsparseL22coomvn_segmented_loopsILj256El21rocsparse_complex_numIdES2_S2_S2_EEvlT0_NS_24const_host_device_scalarIT4_EEPKS3_S8_PKT1_PKT2_PT3_PS3_PS5_21rocsparse_index_base_b.num_vgpr, 48
	.set _ZN9rocsparseL22coomvn_segmented_loopsILj256El21rocsparse_complex_numIdES2_S2_S2_EEvlT0_NS_24const_host_device_scalarIT4_EEPKS3_S8_PKT1_PKT2_PT3_PS3_PS5_21rocsparse_index_base_b.num_agpr, 0
	.set _ZN9rocsparseL22coomvn_segmented_loopsILj256El21rocsparse_complex_numIdES2_S2_S2_EEvlT0_NS_24const_host_device_scalarIT4_EEPKS3_S8_PKT1_PKT2_PT3_PS3_PS5_21rocsparse_index_base_b.numbered_sgpr, 38
	.set _ZN9rocsparseL22coomvn_segmented_loopsILj256El21rocsparse_complex_numIdES2_S2_S2_EEvlT0_NS_24const_host_device_scalarIT4_EEPKS3_S8_PKT1_PKT2_PT3_PS3_PS5_21rocsparse_index_base_b.num_named_barrier, 0
	.set _ZN9rocsparseL22coomvn_segmented_loopsILj256El21rocsparse_complex_numIdES2_S2_S2_EEvlT0_NS_24const_host_device_scalarIT4_EEPKS3_S8_PKT1_PKT2_PT3_PS3_PS5_21rocsparse_index_base_b.private_seg_size, 0
	.set _ZN9rocsparseL22coomvn_segmented_loopsILj256El21rocsparse_complex_numIdES2_S2_S2_EEvlT0_NS_24const_host_device_scalarIT4_EEPKS3_S8_PKT1_PKT2_PT3_PS3_PS5_21rocsparse_index_base_b.uses_vcc, 1
	.set _ZN9rocsparseL22coomvn_segmented_loopsILj256El21rocsparse_complex_numIdES2_S2_S2_EEvlT0_NS_24const_host_device_scalarIT4_EEPKS3_S8_PKT1_PKT2_PT3_PS3_PS5_21rocsparse_index_base_b.uses_flat_scratch, 0
	.set _ZN9rocsparseL22coomvn_segmented_loopsILj256El21rocsparse_complex_numIdES2_S2_S2_EEvlT0_NS_24const_host_device_scalarIT4_EEPKS3_S8_PKT1_PKT2_PT3_PS3_PS5_21rocsparse_index_base_b.has_dyn_sized_stack, 0
	.set _ZN9rocsparseL22coomvn_segmented_loopsILj256El21rocsparse_complex_numIdES2_S2_S2_EEvlT0_NS_24const_host_device_scalarIT4_EEPKS3_S8_PKT1_PKT2_PT3_PS3_PS5_21rocsparse_index_base_b.has_recursion, 0
	.set _ZN9rocsparseL22coomvn_segmented_loopsILj256El21rocsparse_complex_numIdES2_S2_S2_EEvlT0_NS_24const_host_device_scalarIT4_EEPKS3_S8_PKT1_PKT2_PT3_PS3_PS5_21rocsparse_index_base_b.has_indirect_call, 0
	.section	.AMDGPU.csdata,"",@progbits
; Kernel info:
; codeLenInByte = 3064
; TotalNumSgprs: 40
; NumVgprs: 48
; ScratchSize: 0
; MemoryBound: 1
; FloatMode: 240
; IeeeMode: 1
; LDSByteSize: 6144 bytes/workgroup (compile time only)
; SGPRBlocks: 0
; VGPRBlocks: 2
; NumSGPRsForWavesPerEU: 40
; NumVGPRsForWavesPerEU: 48
; NamedBarCnt: 0
; Occupancy: 16
; WaveLimiterHint : 1
; COMPUTE_PGM_RSRC2:SCRATCH_EN: 0
; COMPUTE_PGM_RSRC2:USER_SGPR: 2
; COMPUTE_PGM_RSRC2:TRAP_HANDLER: 0
; COMPUTE_PGM_RSRC2:TGID_X_EN: 1
; COMPUTE_PGM_RSRC2:TGID_Y_EN: 0
; COMPUTE_PGM_RSRC2:TGID_Z_EN: 0
; COMPUTE_PGM_RSRC2:TIDIG_COMP_CNT: 0
	.section	.text._ZN9rocsparseL29coomvn_segmented_loops_reduceILj256El21rocsparse_complex_numIdES2_EEvT0_NS_24const_host_device_scalarIT2_EEPKS3_PKS5_PT1_b,"axG",@progbits,_ZN9rocsparseL29coomvn_segmented_loops_reduceILj256El21rocsparse_complex_numIdES2_EEvT0_NS_24const_host_device_scalarIT2_EEPKS3_PKS5_PT1_b,comdat
	.globl	_ZN9rocsparseL29coomvn_segmented_loops_reduceILj256El21rocsparse_complex_numIdES2_EEvT0_NS_24const_host_device_scalarIT2_EEPKS3_PKS5_PT1_b ; -- Begin function _ZN9rocsparseL29coomvn_segmented_loops_reduceILj256El21rocsparse_complex_numIdES2_EEvT0_NS_24const_host_device_scalarIT2_EEPKS3_PKS5_PT1_b
	.p2align	8
	.type	_ZN9rocsparseL29coomvn_segmented_loops_reduceILj256El21rocsparse_complex_numIdES2_EEvT0_NS_24const_host_device_scalarIT2_EEPKS3_PKS5_PT1_b,@function
_ZN9rocsparseL29coomvn_segmented_loops_reduceILj256El21rocsparse_complex_numIdES2_EEvT0_NS_24const_host_device_scalarIT2_EEPKS3_PKS5_PT1_b: ; @_ZN9rocsparseL29coomvn_segmented_loops_reduceILj256El21rocsparse_complex_numIdES2_EEvT0_NS_24const_host_device_scalarIT2_EEPKS3_PKS5_PT1_b
; %bb.0:
	s_clause 0x1
	s_load_b32 s8, s[0:1], 0x30
	s_load_b128 s[4:7], s[0:1], 0x0
	v_mov_b32_e32 v1, 0
	s_or_b64 s[2:3], s[0:1], 8
	s_wait_kmcnt 0x0
	s_bitcmp1_b32 s8, 0
	s_cselect_b32 s3, s3, s7
	s_cselect_b32 s2, s2, s6
	flat_load_b128 v[2:5], v1, s[2:3]
	s_wait_loadcnt_dscnt 0x0
	v_cmp_neq_f64_e32 vcc_lo, 0, v[2:3]
	v_cmp_neq_f64_e64 s2, 0, v[4:5]
	s_or_b32 s2, vcc_lo, s2
	s_delay_alu instid0(SALU_CYCLE_1)
	s_and_saveexec_b32 s3, s2
	s_cbranch_execz .LBB38_42
; %bb.1:
	v_cmp_lt_i64_e64 s2, s[4:5], 1
	s_and_b32 vcc_lo, exec_lo, s2
	s_cbranch_vccnz .LBB38_42
; %bb.2:
	s_clause 0x1
	s_load_b128 s[8:11], s[0:1], 0x18
	s_load_b64 s[2:3], s[0:1], 0x28
	s_wait_xcnt 0x0
	v_sub_co_u32 v3, s0, v0, 1
	v_sub_co_u32 v4, s1, v0, 2
	s_xor_b32 s12, s0, -1
	v_lshl_add_u32 v19, v3, 3, 0x1000
	v_sub_co_u32 v3, s0, v0, 4
	v_dual_mov_b32 v1, 0 :: v_dual_lshlrev_b32 v2, 3, v0
	s_xor_b32 s13, s1, -1
	v_lshl_add_u32 v21, v4, 3, 0x1000
	v_sub_co_u32 v4, s1, v0, 8
	s_xor_b32 s14, s0, -1
	v_lshl_add_u32 v23, v3, 3, 0x1000
	v_sub_co_u32 v3, s0, v0, 16
	v_dual_mov_b32 v11, v1 :: v_dual_lshlrev_b32 v10, 4, v0
	v_lshl_add_u32 v25, v4, 3, 0x1000
	s_xor_b32 s16, s0, -1
	v_sub_co_u32 v4, s0, v0, 32
	s_delay_alu instid0(VALU_DEP_3) | instskip(SKIP_2) | instid1(VALU_DEP_4)
	v_add_nc_u32_e32 v20, -16, v10
	v_lshl_add_u32 v27, v3, 3, 0x1000
	v_mov_b32_e32 v3, v1
	v_lshl_add_u32 v29, v4, 3, 0x1000
	s_wait_kmcnt 0x0
	v_add_nc_u64_e32 v[4:5], s[10:11], v[10:11]
	s_xor_b32 s15, s1, -1
	v_sub_co_u32 v6, s1, v0, 64
	v_subrev_co_u32 v7, s6, 0x80, v0
	v_add_nc_u64_e32 v[14:15], s[8:9], v[2:3]
	s_delay_alu instid0(VALU_DEP_4)
	v_add_nc_u64_e32 v[12:13], 8, v[4:5]
	v_or_b32_e32 v18, 0x1000, v2
	v_subrev_nc_u32_e32 v22, 32, v10
	v_subrev_nc_u32_e32 v24, 64, v10
	v_add_nc_u32_e32 v26, 0xffffff80, v10
	v_add_nc_u32_e32 v28, 0xffffff00, v10
	s_xor_b32 s17, s0, -1
	v_add_nc_u32_e32 v11, 0xfffffe00, v10
	v_lshl_add_u32 v30, v6, 3, 0x1000
	v_add_nc_u32_e32 v31, 0xfffffc00, v10
	v_lshl_add_u32 v32, v7, 3, 0x1000
	v_add_nc_u32_e32 v33, 0xfffff800, v10
	v_cmp_gt_u32_e64 s0, 0xff, v0
	s_xor_b32 s8, s1, -1
	s_xor_b32 s9, s6, -1
	s_mov_b64 s[6:7], 0
	s_branch .LBB38_4
.LBB38_3:                               ;   in Loop: Header=BB38_4 Depth=1
	s_wait_xcnt 0x0
	s_or_b32 exec_lo, exec_lo, s1
	s_add_nc_u64 s[6:7], s[6:7], 0x100
	v_add_nc_u64_e32 v[12:13], 0x1000, v[12:13]
	v_cmp_lt_i64_e64 s1, s[6:7], s[4:5]
	v_add_nc_u64_e32 v[14:15], 0x800, v[14:15]
	s_wait_storecnt 0x0
	s_barrier_signal -1
	s_barrier_wait -1
	s_and_b32 vcc_lo, exec_lo, s1
	s_cbranch_vccz .LBB38_42
.LBB38_4:                               ; =>This Inner Loop Header: Depth=1
	v_add_nc_u64_e32 v[2:3], s[6:7], v[0:1]
	v_mov_b64_e32 v[4:5], 0
	v_mov_b64_e32 v[16:17], -1
	v_mov_b64_e32 v[8:9], 0
	v_mov_b64_e32 v[6:7], 0
	s_mov_b32 s1, exec_lo
	v_cmpx_gt_i64_e64 s[4:5], v[2:3]
	s_cbranch_execz .LBB38_6
; %bb.5:                                ;   in Loop: Header=BB38_4 Depth=1
	global_load_b64 v[16:17], v[14:15], off
	global_load_b128 v[6:9], v[12:13], off offset:-8
.LBB38_6:                               ;   in Loop: Header=BB38_4 Depth=1
	s_wait_xcnt 0x0
	s_or_b32 exec_lo, exec_lo, s1
	v_mov_b64_e32 v[2:3], 0
	s_wait_loadcnt 0x1
	ds_store_b64 v18, v[16:17]
	s_wait_loadcnt 0x0
	ds_store_b128 v10, v[6:9]
	s_wait_dscnt 0x0
	s_barrier_signal -1
	s_barrier_wait -1
	s_and_saveexec_b32 s1, s12
	s_cbranch_execz .LBB38_10
; %bb.7:                                ;   in Loop: Header=BB38_4 Depth=1
	ds_load_2addr_b64 v[4:7], v19 offset1:1
	v_mov_b64_e32 v[2:3], 0
	s_wait_dscnt 0x0
	v_cmp_eq_u64_e32 vcc_lo, v[6:7], v[4:5]
	v_mov_b64_e32 v[4:5], 0
	s_and_saveexec_b32 s10, vcc_lo
; %bb.8:                                ;   in Loop: Header=BB38_4 Depth=1
	ds_load_b128 v[2:5], v20
; %bb.9:                                ;   in Loop: Header=BB38_4 Depth=1
	s_or_b32 exec_lo, exec_lo, s10
.LBB38_10:                              ;   in Loop: Header=BB38_4 Depth=1
	s_delay_alu instid0(SALU_CYCLE_1)
	s_or_b32 exec_lo, exec_lo, s1
	s_wait_dscnt 0x0
	s_barrier_signal -1
	s_barrier_wait -1
	ds_load_b128 v[6:9], v10
	s_wait_dscnt 0x0
	v_add_f64_e32 v[34:35], v[2:3], v[6:7]
	v_add_f64_e32 v[36:37], v[4:5], v[8:9]
	v_mov_b64_e32 v[4:5], 0
	v_mov_b64_e32 v[8:9], 0
	v_mov_b64_e32 v[6:7], 0
	ds_store_b128 v10, v[34:37]
	s_wait_dscnt 0x0
	s_barrier_signal -1
	s_barrier_wait -1
	s_and_saveexec_b32 s1, s13
	s_cbranch_execz .LBB38_14
; %bb.11:                               ;   in Loop: Header=BB38_4 Depth=1
	ds_load_b64 v[2:3], v18
	ds_load_b64 v[8:9], v21
	v_mov_b64_e32 v[6:7], 0
	s_wait_dscnt 0x0
	v_cmp_eq_u64_e32 vcc_lo, v[2:3], v[8:9]
	v_mov_b64_e32 v[8:9], 0
	s_and_saveexec_b32 s10, vcc_lo
; %bb.12:                               ;   in Loop: Header=BB38_4 Depth=1
	ds_load_b128 v[6:9], v22
; %bb.13:                               ;   in Loop: Header=BB38_4 Depth=1
	s_or_b32 exec_lo, exec_lo, s10
.LBB38_14:                              ;   in Loop: Header=BB38_4 Depth=1
	s_delay_alu instid0(SALU_CYCLE_1)
	s_or_b32 exec_lo, exec_lo, s1
	s_wait_dscnt 0x0
	s_barrier_signal -1
	s_barrier_wait -1
	ds_load_b128 v[34:37], v10
	v_mov_b64_e32 v[2:3], 0
	s_wait_dscnt 0x0
	v_add_f64_e32 v[6:7], v[6:7], v[34:35]
	v_add_f64_e32 v[8:9], v[8:9], v[36:37]
	ds_store_b128 v10, v[6:9]
	s_wait_dscnt 0x0
	s_barrier_signal -1
	s_barrier_wait -1
	s_and_saveexec_b32 s1, s14
	s_cbranch_execz .LBB38_18
; %bb.15:                               ;   in Loop: Header=BB38_4 Depth=1
	ds_load_b64 v[4:5], v18
	ds_load_b64 v[6:7], v23
	v_mov_b64_e32 v[2:3], 0
	s_wait_dscnt 0x0
	v_cmp_eq_u64_e32 vcc_lo, v[4:5], v[6:7]
	v_mov_b64_e32 v[4:5], 0
	s_and_saveexec_b32 s10, vcc_lo
; %bb.16:                               ;   in Loop: Header=BB38_4 Depth=1
	ds_load_b128 v[2:5], v24
; %bb.17:                               ;   in Loop: Header=BB38_4 Depth=1
	s_or_b32 exec_lo, exec_lo, s10
.LBB38_18:                              ;   in Loop: Header=BB38_4 Depth=1
	s_delay_alu instid0(SALU_CYCLE_1)
	s_or_b32 exec_lo, exec_lo, s1
	s_wait_dscnt 0x0
	s_barrier_signal -1
	s_barrier_wait -1
	ds_load_b128 v[6:9], v10
	s_wait_dscnt 0x0
	v_add_f64_e32 v[34:35], v[2:3], v[6:7]
	v_add_f64_e32 v[36:37], v[4:5], v[8:9]
	v_mov_b64_e32 v[4:5], 0
	v_mov_b64_e32 v[8:9], 0
	v_mov_b64_e32 v[6:7], 0
	ds_store_b128 v10, v[34:37]
	s_wait_dscnt 0x0
	s_barrier_signal -1
	s_barrier_wait -1
	s_and_saveexec_b32 s1, s15
	s_cbranch_execz .LBB38_22
; %bb.19:                               ;   in Loop: Header=BB38_4 Depth=1
	ds_load_b64 v[2:3], v18
	ds_load_b64 v[8:9], v25
	v_mov_b64_e32 v[6:7], 0
	s_wait_dscnt 0x0
	v_cmp_eq_u64_e32 vcc_lo, v[2:3], v[8:9]
	v_mov_b64_e32 v[8:9], 0
	s_and_saveexec_b32 s10, vcc_lo
; %bb.20:                               ;   in Loop: Header=BB38_4 Depth=1
	ds_load_b128 v[6:9], v26
; %bb.21:                               ;   in Loop: Header=BB38_4 Depth=1
	s_or_b32 exec_lo, exec_lo, s10
.LBB38_22:                              ;   in Loop: Header=BB38_4 Depth=1
	s_delay_alu instid0(SALU_CYCLE_1)
	s_or_b32 exec_lo, exec_lo, s1
	s_wait_dscnt 0x0
	s_barrier_signal -1
	s_barrier_wait -1
	ds_load_b128 v[34:37], v10
	v_mov_b64_e32 v[2:3], 0
	s_wait_dscnt 0x0
	v_add_f64_e32 v[6:7], v[6:7], v[34:35]
	v_add_f64_e32 v[8:9], v[8:9], v[36:37]
	ds_store_b128 v10, v[6:9]
	s_wait_dscnt 0x0
	s_barrier_signal -1
	s_barrier_wait -1
	s_and_saveexec_b32 s1, s16
	s_cbranch_execz .LBB38_26
; %bb.23:                               ;   in Loop: Header=BB38_4 Depth=1
	ds_load_b64 v[4:5], v18
	ds_load_b64 v[6:7], v27
	v_mov_b64_e32 v[2:3], 0
	s_wait_dscnt 0x0
	v_cmp_eq_u64_e32 vcc_lo, v[4:5], v[6:7]
	v_mov_b64_e32 v[4:5], 0
	s_and_saveexec_b32 s10, vcc_lo
; %bb.24:                               ;   in Loop: Header=BB38_4 Depth=1
	ds_load_b128 v[2:5], v28
; %bb.25:                               ;   in Loop: Header=BB38_4 Depth=1
	s_or_b32 exec_lo, exec_lo, s10
.LBB38_26:                              ;   in Loop: Header=BB38_4 Depth=1
	;; [unrolled: 60-line block ×3, first 2 shown]
	s_delay_alu instid0(SALU_CYCLE_1)
	s_or_b32 exec_lo, exec_lo, s1
	s_wait_dscnt 0x0
	s_barrier_signal -1
	s_barrier_wait -1
	ds_load_b128 v[6:9], v10
	s_wait_dscnt 0x0
	v_add_f64_e32 v[6:7], v[2:3], v[6:7]
	v_add_f64_e32 v[8:9], v[4:5], v[8:9]
	v_mov_b64_e32 v[4:5], 0
	v_mov_b64_e32 v[2:3], 0
	ds_store_b128 v10, v[6:9]
	s_wait_dscnt 0x0
	s_barrier_signal -1
	s_barrier_wait -1
	s_and_saveexec_b32 s1, s9
	s_cbranch_execz .LBB38_38
; %bb.35:                               ;   in Loop: Header=BB38_4 Depth=1
	ds_load_b64 v[4:5], v18
	ds_load_b64 v[6:7], v32
	v_mov_b64_e32 v[2:3], 0
	s_wait_dscnt 0x0
	v_cmp_eq_u64_e32 vcc_lo, v[4:5], v[6:7]
	v_mov_b64_e32 v[4:5], 0
	s_and_saveexec_b32 s10, vcc_lo
; %bb.36:                               ;   in Loop: Header=BB38_4 Depth=1
	ds_load_b128 v[2:5], v33
; %bb.37:                               ;   in Loop: Header=BB38_4 Depth=1
	s_or_b32 exec_lo, exec_lo, s10
.LBB38_38:                              ;   in Loop: Header=BB38_4 Depth=1
	s_delay_alu instid0(SALU_CYCLE_1)
	s_or_b32 exec_lo, exec_lo, s1
	s_wait_dscnt 0x0
	s_barrier_signal -1
	s_barrier_wait -1
	ds_load_b128 v[6:9], v10
	s_wait_dscnt 0x0
	v_add_f64_e32 v[2:3], v[2:3], v[6:7]
	v_add_f64_e32 v[4:5], v[4:5], v[8:9]
	ds_store_b128 v10, v[2:5]
	s_wait_dscnt 0x0
	s_barrier_signal -1
	s_barrier_wait -1
	ds_load_b64 v[2:3], v18
	v_mov_b64_e32 v[4:5], -1
	s_and_saveexec_b32 s1, s0
; %bb.39:                               ;   in Loop: Header=BB38_4 Depth=1
	ds_load_b64 v[4:5], v18 offset:8
; %bb.40:                               ;   in Loop: Header=BB38_4 Depth=1
	s_or_b32 exec_lo, exec_lo, s1
	s_wait_dscnt 0x0
	v_cmp_ne_u64_e32 vcc_lo, v[2:3], v[4:5]
	v_cmp_lt_i64_e64 s1, -1, v[2:3]
	s_and_b32 s10, s1, vcc_lo
	s_delay_alu instid0(SALU_CYCLE_1)
	s_and_saveexec_b32 s1, s10
	s_cbranch_execz .LBB38_3
; %bb.41:                               ;   in Loop: Header=BB38_4 Depth=1
	v_lshl_add_u64 v[16:17], v[2:3], 4, s[2:3]
	ds_load_b128 v[6:9], v10
	global_load_b128 v[2:5], v[16:17], off
	s_wait_loadcnt_dscnt 0x0
	v_add_f64_e32 v[2:3], v[6:7], v[2:3]
	v_add_f64_e32 v[4:5], v[8:9], v[4:5]
	global_store_b128 v[16:17], v[2:5], off
	s_branch .LBB38_3
.LBB38_42:
	s_endpgm
	.section	.rodata,"a",@progbits
	.p2align	6, 0x0
	.amdhsa_kernel _ZN9rocsparseL29coomvn_segmented_loops_reduceILj256El21rocsparse_complex_numIdES2_EEvT0_NS_24const_host_device_scalarIT2_EEPKS3_PKS5_PT1_b
		.amdhsa_group_segment_fixed_size 6144
		.amdhsa_private_segment_fixed_size 0
		.amdhsa_kernarg_size 52
		.amdhsa_user_sgpr_count 2
		.amdhsa_user_sgpr_dispatch_ptr 0
		.amdhsa_user_sgpr_queue_ptr 0
		.amdhsa_user_sgpr_kernarg_segment_ptr 1
		.amdhsa_user_sgpr_dispatch_id 0
		.amdhsa_user_sgpr_kernarg_preload_length 0
		.amdhsa_user_sgpr_kernarg_preload_offset 0
		.amdhsa_user_sgpr_private_segment_size 0
		.amdhsa_wavefront_size32 1
		.amdhsa_uses_dynamic_stack 0
		.amdhsa_enable_private_segment 0
		.amdhsa_system_sgpr_workgroup_id_x 1
		.amdhsa_system_sgpr_workgroup_id_y 0
		.amdhsa_system_sgpr_workgroup_id_z 0
		.amdhsa_system_sgpr_workgroup_info 0
		.amdhsa_system_vgpr_workitem_id 0
		.amdhsa_next_free_vgpr 38
		.amdhsa_next_free_sgpr 18
		.amdhsa_named_barrier_count 0
		.amdhsa_reserve_vcc 1
		.amdhsa_float_round_mode_32 0
		.amdhsa_float_round_mode_16_64 0
		.amdhsa_float_denorm_mode_32 3
		.amdhsa_float_denorm_mode_16_64 3
		.amdhsa_fp16_overflow 0
		.amdhsa_memory_ordered 1
		.amdhsa_forward_progress 1
		.amdhsa_inst_pref_size 14
		.amdhsa_round_robin_scheduling 0
		.amdhsa_exception_fp_ieee_invalid_op 0
		.amdhsa_exception_fp_denorm_src 0
		.amdhsa_exception_fp_ieee_div_zero 0
		.amdhsa_exception_fp_ieee_overflow 0
		.amdhsa_exception_fp_ieee_underflow 0
		.amdhsa_exception_fp_ieee_inexact 0
		.amdhsa_exception_int_div_zero 0
	.end_amdhsa_kernel
	.section	.text._ZN9rocsparseL29coomvn_segmented_loops_reduceILj256El21rocsparse_complex_numIdES2_EEvT0_NS_24const_host_device_scalarIT2_EEPKS3_PKS5_PT1_b,"axG",@progbits,_ZN9rocsparseL29coomvn_segmented_loops_reduceILj256El21rocsparse_complex_numIdES2_EEvT0_NS_24const_host_device_scalarIT2_EEPKS3_PKS5_PT1_b,comdat
.Lfunc_end38:
	.size	_ZN9rocsparseL29coomvn_segmented_loops_reduceILj256El21rocsparse_complex_numIdES2_EEvT0_NS_24const_host_device_scalarIT2_EEPKS3_PKS5_PT1_b, .Lfunc_end38-_ZN9rocsparseL29coomvn_segmented_loops_reduceILj256El21rocsparse_complex_numIdES2_EEvT0_NS_24const_host_device_scalarIT2_EEPKS3_PKS5_PT1_b
                                        ; -- End function
	.set _ZN9rocsparseL29coomvn_segmented_loops_reduceILj256El21rocsparse_complex_numIdES2_EEvT0_NS_24const_host_device_scalarIT2_EEPKS3_PKS5_PT1_b.num_vgpr, 38
	.set _ZN9rocsparseL29coomvn_segmented_loops_reduceILj256El21rocsparse_complex_numIdES2_EEvT0_NS_24const_host_device_scalarIT2_EEPKS3_PKS5_PT1_b.num_agpr, 0
	.set _ZN9rocsparseL29coomvn_segmented_loops_reduceILj256El21rocsparse_complex_numIdES2_EEvT0_NS_24const_host_device_scalarIT2_EEPKS3_PKS5_PT1_b.numbered_sgpr, 18
	.set _ZN9rocsparseL29coomvn_segmented_loops_reduceILj256El21rocsparse_complex_numIdES2_EEvT0_NS_24const_host_device_scalarIT2_EEPKS3_PKS5_PT1_b.num_named_barrier, 0
	.set _ZN9rocsparseL29coomvn_segmented_loops_reduceILj256El21rocsparse_complex_numIdES2_EEvT0_NS_24const_host_device_scalarIT2_EEPKS3_PKS5_PT1_b.private_seg_size, 0
	.set _ZN9rocsparseL29coomvn_segmented_loops_reduceILj256El21rocsparse_complex_numIdES2_EEvT0_NS_24const_host_device_scalarIT2_EEPKS3_PKS5_PT1_b.uses_vcc, 1
	.set _ZN9rocsparseL29coomvn_segmented_loops_reduceILj256El21rocsparse_complex_numIdES2_EEvT0_NS_24const_host_device_scalarIT2_EEPKS3_PKS5_PT1_b.uses_flat_scratch, 0
	.set _ZN9rocsparseL29coomvn_segmented_loops_reduceILj256El21rocsparse_complex_numIdES2_EEvT0_NS_24const_host_device_scalarIT2_EEPKS3_PKS5_PT1_b.has_dyn_sized_stack, 0
	.set _ZN9rocsparseL29coomvn_segmented_loops_reduceILj256El21rocsparse_complex_numIdES2_EEvT0_NS_24const_host_device_scalarIT2_EEPKS3_PKS5_PT1_b.has_recursion, 0
	.set _ZN9rocsparseL29coomvn_segmented_loops_reduceILj256El21rocsparse_complex_numIdES2_EEvT0_NS_24const_host_device_scalarIT2_EEPKS3_PKS5_PT1_b.has_indirect_call, 0
	.section	.AMDGPU.csdata,"",@progbits
; Kernel info:
; codeLenInByte = 1712
; TotalNumSgprs: 20
; NumVgprs: 38
; ScratchSize: 0
; MemoryBound: 1
; FloatMode: 240
; IeeeMode: 1
; LDSByteSize: 6144 bytes/workgroup (compile time only)
; SGPRBlocks: 0
; VGPRBlocks: 2
; NumSGPRsForWavesPerEU: 20
; NumVGPRsForWavesPerEU: 38
; NamedBarCnt: 0
; Occupancy: 16
; WaveLimiterHint : 0
; COMPUTE_PGM_RSRC2:SCRATCH_EN: 0
; COMPUTE_PGM_RSRC2:USER_SGPR: 2
; COMPUTE_PGM_RSRC2:TRAP_HANDLER: 0
; COMPUTE_PGM_RSRC2:TGID_X_EN: 1
; COMPUTE_PGM_RSRC2:TGID_Y_EN: 0
; COMPUTE_PGM_RSRC2:TGID_Z_EN: 0
; COMPUTE_PGM_RSRC2:TIDIG_COMP_CNT: 0
	.section	.text._ZN9rocsparseL13coomvt_kernelILj1024El21rocsparse_complex_numIdES2_S2_S2_EEv20rocsparse_operation_lNS_24const_host_device_scalarIT4_EEPKT0_S9_PKT1_PKT2_PT3_21rocsparse_index_base_b,"axG",@progbits,_ZN9rocsparseL13coomvt_kernelILj1024El21rocsparse_complex_numIdES2_S2_S2_EEv20rocsparse_operation_lNS_24const_host_device_scalarIT4_EEPKT0_S9_PKT1_PKT2_PT3_21rocsparse_index_base_b,comdat
	.globl	_ZN9rocsparseL13coomvt_kernelILj1024El21rocsparse_complex_numIdES2_S2_S2_EEv20rocsparse_operation_lNS_24const_host_device_scalarIT4_EEPKT0_S9_PKT1_PKT2_PT3_21rocsparse_index_base_b ; -- Begin function _ZN9rocsparseL13coomvt_kernelILj1024El21rocsparse_complex_numIdES2_S2_S2_EEv20rocsparse_operation_lNS_24const_host_device_scalarIT4_EEPKT0_S9_PKT1_PKT2_PT3_21rocsparse_index_base_b
	.p2align	8
	.type	_ZN9rocsparseL13coomvt_kernelILj1024El21rocsparse_complex_numIdES2_S2_S2_EEv20rocsparse_operation_lNS_24const_host_device_scalarIT4_EEPKT0_S9_PKT1_PKT2_PT3_21rocsparse_index_base_b,@function
_ZN9rocsparseL13coomvt_kernelILj1024El21rocsparse_complex_numIdES2_S2_S2_EEv20rocsparse_operation_lNS_24const_host_device_scalarIT4_EEPKT0_S9_PKT1_PKT2_PT3_21rocsparse_index_base_b: ; @_ZN9rocsparseL13coomvt_kernelILj1024El21rocsparse_complex_numIdES2_S2_S2_EEv20rocsparse_operation_lNS_24const_host_device_scalarIT4_EEPKT0_S9_PKT1_PKT2_PT3_21rocsparse_index_base_b
; %bb.0:
	s_clause 0x1
	s_load_b64 s[8:9], s[0:1], 0x48
	s_load_b128 s[4:7], s[0:1], 0x8
	v_mov_b32_e32 v1, 0
	s_add_nc_u64 s[2:3], s[0:1], 16
	s_wait_kmcnt 0x0
	s_bitcmp1_b32 s9, 0
	s_cselect_b32 s3, s3, s7
	s_cselect_b32 s2, s2, s6
	flat_load_b128 v[2:5], v1, s[2:3]
	s_wait_loadcnt_dscnt 0x0
	v_cmp_neq_f64_e32 vcc_lo, 0, v[2:3]
	v_cmp_neq_f64_e64 s2, 0, v[4:5]
	s_or_b32 s2, vcc_lo, s2
	s_delay_alu instid0(SALU_CYCLE_1)
	s_and_saveexec_b32 s3, s2
	s_cbranch_execz .LBB39_3
; %bb.1:
	s_load_b32 s2, s[0:1], 0x5c
	s_bfe_u32 s3, ttmp6, 0x4000c
	s_and_b32 s6, ttmp6, 15
	s_add_co_i32 s3, s3, 1
	s_getreg_b32 s7, hwreg(HW_REG_IB_STS2, 6, 4)
	s_mul_i32 s3, ttmp9, s3
	s_mov_b32 s9, 0
	s_add_co_i32 s6, s6, s3
	s_wait_kmcnt 0x0
	s_and_b32 s2, s2, 0xffff
	s_cmp_eq_u32 s7, 0
	s_cselect_b32 s3, ttmp9, s6
	s_delay_alu instid0(SALU_CYCLE_1) | instskip(NEXT) | instid1(VALU_DEP_1)
	v_mad_u32 v0, s3, s2, v0
	v_cmp_gt_i64_e32 vcc_lo, s[4:5], v[0:1]
	s_and_b32 exec_lo, exec_lo, vcc_lo
	s_cbranch_execz .LBB39_3
; %bb.2:
	s_load_b256 s[12:19], s[0:1], 0x20
	v_lshlrev_b64_e32 v[14:15], 3, v[0:1]
	s_load_b32 s2, s[0:1], 0x0
	s_wait_kmcnt 0x0
	s_delay_alu instid0(VALU_DEP_1)
	v_add_nc_u64_e32 v[6:7], s[12:13], v[14:15]
	v_lshl_add_u64 v[0:1], v[0:1], 4, s[16:17]
	s_cmp_eq_u32 s2, 0x71
	s_load_b64 s[0:1], s[0:1], 0x40
	s_cselect_b32 vcc_lo, -1, 0
	global_load_b64 v[10:11], v[6:7], off
	global_load_b128 v[6:9], v[0:1], off
	s_wait_loadcnt 0x1
	s_wait_xcnt 0x0
	v_sub_nc_u64_e64 v[0:1], v[10:11], s[8:9]
	s_delay_alu instid0(VALU_DEP_1)
	v_lshl_add_u64 v[0:1], v[0:1], 4, s[18:19]
	global_load_b128 v[10:13], v[0:1], off
	s_wait_xcnt 0x0
	v_add_nc_u64_e32 v[0:1], s[14:15], v[14:15]
	s_wait_loadcnt 0x1
	v_xor_b32_e32 v14, 0x80000000, v9
	s_delay_alu instid0(VALU_DEP_1) | instskip(SKIP_3) | instid1(VALU_DEP_2)
	v_cndmask_b32_e32 v9, v9, v14, vcc_lo
	global_load_b64 v[0:1], v[0:1], off
	v_mul_f64_e32 v[14:15], v[2:3], v[8:9]
	v_mul_f64_e64 v[8:9], v[8:9], -v[4:5]
	v_fmac_f64_e32 v[14:15], v[4:5], v[6:7]
	s_delay_alu instid0(VALU_DEP_2) | instskip(SKIP_1) | instid1(VALU_DEP_2)
	v_fmac_f64_e32 v[8:9], v[2:3], v[6:7]
	s_wait_loadcnt 0x1
	v_mul_f64_e64 v[2:3], v[12:13], -v[14:15]
	s_delay_alu instid0(VALU_DEP_2) | instskip(SKIP_3) | instid1(VALU_DEP_1)
	v_mul_f64_e32 v[4:5], v[8:9], v[12:13]
	s_wait_loadcnt 0x0
	v_sub_nc_u64_e64 v[0:1], v[0:1], s[8:9]
	s_wait_kmcnt 0x0
	v_lshl_add_u64 v[0:1], v[0:1], 4, s[0:1]
	s_delay_alu instid0(VALU_DEP_4) | instskip(NEXT) | instid1(VALU_DEP_4)
	v_fmac_f64_e32 v[2:3], v[8:9], v[10:11]
	v_fmac_f64_e32 v[4:5], v[14:15], v[10:11]
	global_atomic_add_f64 v[0:1], v[2:3], off scope:SCOPE_DEV
	s_wait_xcnt 0x0
	global_atomic_add_f64 v[0:1], v[4:5], off offset:8 scope:SCOPE_DEV
.LBB39_3:
	s_endpgm
	.section	.rodata,"a",@progbits
	.p2align	6, 0x0
	.amdhsa_kernel _ZN9rocsparseL13coomvt_kernelILj1024El21rocsparse_complex_numIdES2_S2_S2_EEv20rocsparse_operation_lNS_24const_host_device_scalarIT4_EEPKT0_S9_PKT1_PKT2_PT3_21rocsparse_index_base_b
		.amdhsa_group_segment_fixed_size 0
		.amdhsa_private_segment_fixed_size 0
		.amdhsa_kernarg_size 336
		.amdhsa_user_sgpr_count 2
		.amdhsa_user_sgpr_dispatch_ptr 0
		.amdhsa_user_sgpr_queue_ptr 0
		.amdhsa_user_sgpr_kernarg_segment_ptr 1
		.amdhsa_user_sgpr_dispatch_id 0
		.amdhsa_user_sgpr_kernarg_preload_length 0
		.amdhsa_user_sgpr_kernarg_preload_offset 0
		.amdhsa_user_sgpr_private_segment_size 0
		.amdhsa_wavefront_size32 1
		.amdhsa_uses_dynamic_stack 0
		.amdhsa_enable_private_segment 0
		.amdhsa_system_sgpr_workgroup_id_x 1
		.amdhsa_system_sgpr_workgroup_id_y 0
		.amdhsa_system_sgpr_workgroup_id_z 0
		.amdhsa_system_sgpr_workgroup_info 0
		.amdhsa_system_vgpr_workitem_id 0
		.amdhsa_next_free_vgpr 16
		.amdhsa_next_free_sgpr 20
		.amdhsa_named_barrier_count 0
		.amdhsa_reserve_vcc 1
		.amdhsa_float_round_mode_32 0
		.amdhsa_float_round_mode_16_64 0
		.amdhsa_float_denorm_mode_32 3
		.amdhsa_float_denorm_mode_16_64 3
		.amdhsa_fp16_overflow 0
		.amdhsa_memory_ordered 1
		.amdhsa_forward_progress 1
		.amdhsa_inst_pref_size 4
		.amdhsa_round_robin_scheduling 0
		.amdhsa_exception_fp_ieee_invalid_op 0
		.amdhsa_exception_fp_denorm_src 0
		.amdhsa_exception_fp_ieee_div_zero 0
		.amdhsa_exception_fp_ieee_overflow 0
		.amdhsa_exception_fp_ieee_underflow 0
		.amdhsa_exception_fp_ieee_inexact 0
		.amdhsa_exception_int_div_zero 0
	.end_amdhsa_kernel
	.section	.text._ZN9rocsparseL13coomvt_kernelILj1024El21rocsparse_complex_numIdES2_S2_S2_EEv20rocsparse_operation_lNS_24const_host_device_scalarIT4_EEPKT0_S9_PKT1_PKT2_PT3_21rocsparse_index_base_b,"axG",@progbits,_ZN9rocsparseL13coomvt_kernelILj1024El21rocsparse_complex_numIdES2_S2_S2_EEv20rocsparse_operation_lNS_24const_host_device_scalarIT4_EEPKT0_S9_PKT1_PKT2_PT3_21rocsparse_index_base_b,comdat
.Lfunc_end39:
	.size	_ZN9rocsparseL13coomvt_kernelILj1024El21rocsparse_complex_numIdES2_S2_S2_EEv20rocsparse_operation_lNS_24const_host_device_scalarIT4_EEPKT0_S9_PKT1_PKT2_PT3_21rocsparse_index_base_b, .Lfunc_end39-_ZN9rocsparseL13coomvt_kernelILj1024El21rocsparse_complex_numIdES2_S2_S2_EEv20rocsparse_operation_lNS_24const_host_device_scalarIT4_EEPKT0_S9_PKT1_PKT2_PT3_21rocsparse_index_base_b
                                        ; -- End function
	.set _ZN9rocsparseL13coomvt_kernelILj1024El21rocsparse_complex_numIdES2_S2_S2_EEv20rocsparse_operation_lNS_24const_host_device_scalarIT4_EEPKT0_S9_PKT1_PKT2_PT3_21rocsparse_index_base_b.num_vgpr, 16
	.set _ZN9rocsparseL13coomvt_kernelILj1024El21rocsparse_complex_numIdES2_S2_S2_EEv20rocsparse_operation_lNS_24const_host_device_scalarIT4_EEPKT0_S9_PKT1_PKT2_PT3_21rocsparse_index_base_b.num_agpr, 0
	.set _ZN9rocsparseL13coomvt_kernelILj1024El21rocsparse_complex_numIdES2_S2_S2_EEv20rocsparse_operation_lNS_24const_host_device_scalarIT4_EEPKT0_S9_PKT1_PKT2_PT3_21rocsparse_index_base_b.numbered_sgpr, 20
	.set _ZN9rocsparseL13coomvt_kernelILj1024El21rocsparse_complex_numIdES2_S2_S2_EEv20rocsparse_operation_lNS_24const_host_device_scalarIT4_EEPKT0_S9_PKT1_PKT2_PT3_21rocsparse_index_base_b.num_named_barrier, 0
	.set _ZN9rocsparseL13coomvt_kernelILj1024El21rocsparse_complex_numIdES2_S2_S2_EEv20rocsparse_operation_lNS_24const_host_device_scalarIT4_EEPKT0_S9_PKT1_PKT2_PT3_21rocsparse_index_base_b.private_seg_size, 0
	.set _ZN9rocsparseL13coomvt_kernelILj1024El21rocsparse_complex_numIdES2_S2_S2_EEv20rocsparse_operation_lNS_24const_host_device_scalarIT4_EEPKT0_S9_PKT1_PKT2_PT3_21rocsparse_index_base_b.uses_vcc, 1
	.set _ZN9rocsparseL13coomvt_kernelILj1024El21rocsparse_complex_numIdES2_S2_S2_EEv20rocsparse_operation_lNS_24const_host_device_scalarIT4_EEPKT0_S9_PKT1_PKT2_PT3_21rocsparse_index_base_b.uses_flat_scratch, 0
	.set _ZN9rocsparseL13coomvt_kernelILj1024El21rocsparse_complex_numIdES2_S2_S2_EEv20rocsparse_operation_lNS_24const_host_device_scalarIT4_EEPKT0_S9_PKT1_PKT2_PT3_21rocsparse_index_base_b.has_dyn_sized_stack, 0
	.set _ZN9rocsparseL13coomvt_kernelILj1024El21rocsparse_complex_numIdES2_S2_S2_EEv20rocsparse_operation_lNS_24const_host_device_scalarIT4_EEPKT0_S9_PKT1_PKT2_PT3_21rocsparse_index_base_b.has_recursion, 0
	.set _ZN9rocsparseL13coomvt_kernelILj1024El21rocsparse_complex_numIdES2_S2_S2_EEv20rocsparse_operation_lNS_24const_host_device_scalarIT4_EEPKT0_S9_PKT1_PKT2_PT3_21rocsparse_index_base_b.has_indirect_call, 0
	.section	.AMDGPU.csdata,"",@progbits
; Kernel info:
; codeLenInByte = 448
; TotalNumSgprs: 22
; NumVgprs: 16
; ScratchSize: 0
; MemoryBound: 0
; FloatMode: 240
; IeeeMode: 1
; LDSByteSize: 0 bytes/workgroup (compile time only)
; SGPRBlocks: 0
; VGPRBlocks: 0
; NumSGPRsForWavesPerEU: 22
; NumVGPRsForWavesPerEU: 16
; NamedBarCnt: 0
; Occupancy: 16
; WaveLimiterHint : 1
; COMPUTE_PGM_RSRC2:SCRATCH_EN: 0
; COMPUTE_PGM_RSRC2:USER_SGPR: 2
; COMPUTE_PGM_RSRC2:TRAP_HANDLER: 0
; COMPUTE_PGM_RSRC2:TGID_X_EN: 1
; COMPUTE_PGM_RSRC2:TGID_Y_EN: 0
; COMPUTE_PGM_RSRC2:TGID_Z_EN: 0
; COMPUTE_PGM_RSRC2:TIDIG_COMP_CNT: 0
	.section	.text._ZN9rocsparseL19coomvn_atomic_loopsILj256ELj1El21rocsparse_complex_numIdES2_S2_S2_EEvlNS_24const_host_device_scalarIT5_EEPKT1_S8_PKT2_PKT3_PT4_21rocsparse_index_base_b,"axG",@progbits,_ZN9rocsparseL19coomvn_atomic_loopsILj256ELj1El21rocsparse_complex_numIdES2_S2_S2_EEvlNS_24const_host_device_scalarIT5_EEPKT1_S8_PKT2_PKT3_PT4_21rocsparse_index_base_b,comdat
	.globl	_ZN9rocsparseL19coomvn_atomic_loopsILj256ELj1El21rocsparse_complex_numIdES2_S2_S2_EEvlNS_24const_host_device_scalarIT5_EEPKT1_S8_PKT2_PKT3_PT4_21rocsparse_index_base_b ; -- Begin function _ZN9rocsparseL19coomvn_atomic_loopsILj256ELj1El21rocsparse_complex_numIdES2_S2_S2_EEvlNS_24const_host_device_scalarIT5_EEPKT1_S8_PKT2_PKT3_PT4_21rocsparse_index_base_b
	.p2align	8
	.type	_ZN9rocsparseL19coomvn_atomic_loopsILj256ELj1El21rocsparse_complex_numIdES2_S2_S2_EEvlNS_24const_host_device_scalarIT5_EEPKT1_S8_PKT2_PKT3_PT4_21rocsparse_index_base_b,@function
_ZN9rocsparseL19coomvn_atomic_loopsILj256ELj1El21rocsparse_complex_numIdES2_S2_S2_EEvlNS_24const_host_device_scalarIT5_EEPKT1_S8_PKT2_PKT3_PT4_21rocsparse_index_base_b: ; @_ZN9rocsparseL19coomvn_atomic_loopsILj256ELj1El21rocsparse_complex_numIdES2_S2_S2_EEvlNS_24const_host_device_scalarIT5_EEPKT1_S8_PKT2_PKT3_PT4_21rocsparse_index_base_b
; %bb.0:
	s_clause 0x1
	s_load_b64 s[8:9], s[0:1], 0x40
	s_load_b128 s[4:7], s[0:1], 0x0
	v_mov_b32_e32 v13, 0
	s_or_b64 s[2:3], s[0:1], 8
	s_wait_kmcnt 0x0
	s_bitcmp1_b32 s9, 0
	s_cselect_b32 s3, s3, s7
	s_cselect_b32 s2, s2, s6
	flat_load_b128 v[2:5], v13, s[2:3]
	s_wait_loadcnt_dscnt 0x0
	v_cmp_neq_f64_e32 vcc_lo, 0, v[2:3]
	v_cmp_neq_f64_e64 s2, 0, v[4:5]
	s_or_b32 s2, vcc_lo, s2
	s_delay_alu instid0(SALU_CYCLE_1)
	s_and_saveexec_b32 s3, s2
	s_cbranch_execz .LBB40_40
; %bb.1:
	s_bfe_u32 s2, ttmp6, 0x4000c
	v_mov_b64_e32 v[6:7], 0
	s_add_co_i32 s2, s2, 1
	s_and_b32 s3, ttmp6, 15
	s_mul_i32 s2, ttmp9, s2
	s_getreg_b32 s6, hwreg(HW_REG_IB_STS2, 6, 4)
	s_add_co_i32 s3, s3, s2
	s_cmp_eq_u32 s6, 0
	v_mov_b64_e32 v[10:11], -1
	s_cselect_b32 s2, ttmp9, s3
	v_mov_b64_e32 v[8:9], v[6:7]
	v_lshl_or_b32 v12, s2, 8, v0
	s_mov_b32 s9, 0
	s_mov_b32 s2, exec_lo
	s_delay_alu instid0(VALU_DEP_1)
	v_cmpx_gt_i64_e64 s[4:5], v[12:13]
	s_cbranch_execz .LBB40_3
; %bb.2:
	s_load_b256 s[12:19], s[0:1], 0x18
	v_lshlrev_b64_e32 v[6:7], 3, v[12:13]
	s_wait_kmcnt 0x0
	s_delay_alu instid0(VALU_DEP_1)
	v_add_nc_u64_e32 v[8:9], s[14:15], v[6:7]
	v_lshl_add_u64 v[18:19], v[12:13], 4, s[16:17]
	v_add_nc_u64_e32 v[6:7], s[12:13], v[6:7]
	global_load_b64 v[8:9], v[8:9], off th:TH_LOAD_NT
	s_wait_loadcnt 0x0
	v_sub_nc_u64_e64 v[8:9], v[8:9], s[8:9]
	s_delay_alu instid0(VALU_DEP_1)
	v_lshl_add_u64 v[8:9], v[8:9], 4, s[18:19]
	global_load_b128 v[10:13], v[18:19], off th:TH_LOAD_NT
	global_load_b128 v[14:17], v[8:9], off
	global_load_b64 v[18:19], v[6:7], off th:TH_LOAD_NT
	s_wait_loadcnt 0x1
	s_wait_xcnt 0x0
	v_mul_f64_e64 v[6:7], v[16:17], -v[12:13]
	v_mul_f64_e32 v[8:9], v[10:11], v[16:17]
	s_delay_alu instid0(VALU_DEP_2) | instskip(NEXT) | instid1(VALU_DEP_2)
	v_fmac_f64_e32 v[6:7], v[10:11], v[14:15]
	v_fmac_f64_e32 v[8:9], v[12:13], v[14:15]
	s_wait_loadcnt 0x0
	v_sub_nc_u64_e64 v[10:11], v[18:19], s[8:9]
.LBB40_3:
	s_or_b32 exec_lo, exec_lo, s2
	v_dual_lshlrev_b32 v13, 3, v0 :: v_dual_lshlrev_b32 v12, 4, v0
	s_mov_b32 s2, exec_lo
	ds_store_b64 v13, v[10:11] offset:4096
	ds_store_b128 v12, v[6:9]
	v_or_b32_e32 v1, 0x1000, v13
	s_wait_dscnt 0x0
	s_barrier_signal -1
	s_barrier_wait -1
	v_cmpx_ne_u32_e32 0, v0
	s_cbranch_execz .LBB40_7
; %bb.4:
	v_add_nc_u32_e32 v13, -8, v1
	s_mov_b32 s3, exec_lo
	ds_load_b64 v[14:15], v13
	s_wait_dscnt 0x0
	v_cmpx_eq_u64_e64 v[10:11], v[14:15]
	s_cbranch_execz .LBB40_6
; %bb.5:
	v_add_nc_u32_e32 v13, -16, v12
	ds_load_b128 v[14:17], v13
	s_wait_dscnt 0x0
	v_add_f64_e32 v[6:7], v[6:7], v[14:15]
	v_add_f64_e32 v[8:9], v[8:9], v[16:17]
.LBB40_6:
	s_or_b32 exec_lo, exec_lo, s3
.LBB40_7:
	s_delay_alu instid0(SALU_CYCLE_1) | instskip(NEXT) | instid1(SALU_CYCLE_1)
	s_or_b32 exec_lo, exec_lo, s2
	s_mov_b32 s2, exec_lo
	s_barrier_signal -1
	s_barrier_wait -1
	ds_store_b128 v12, v[6:9]
	s_wait_dscnt 0x0
	s_barrier_signal -1
	s_barrier_wait -1
	v_cmpx_lt_u32_e32 1, v0
	s_cbranch_execz .LBB40_11
; %bb.8:
	v_add_nc_u32_e32 v13, -16, v1
	s_mov_b32 s3, exec_lo
	ds_load_b64 v[14:15], v13
	s_wait_dscnt 0x0
	v_cmpx_eq_u64_e64 v[10:11], v[14:15]
	s_cbranch_execz .LBB40_10
; %bb.9:
	v_subrev_nc_u32_e32 v13, 32, v12
	ds_load_b128 v[14:17], v13
	s_wait_dscnt 0x0
	v_add_f64_e32 v[6:7], v[6:7], v[14:15]
	v_add_f64_e32 v[8:9], v[8:9], v[16:17]
.LBB40_10:
	s_or_b32 exec_lo, exec_lo, s3
.LBB40_11:
	s_delay_alu instid0(SALU_CYCLE_1) | instskip(NEXT) | instid1(SALU_CYCLE_1)
	s_or_b32 exec_lo, exec_lo, s2
	s_mov_b32 s2, exec_lo
	s_barrier_signal -1
	s_barrier_wait -1
	ds_store_b128 v12, v[6:9]
	s_wait_dscnt 0x0
	s_barrier_signal -1
	s_barrier_wait -1
	v_cmpx_lt_u32_e32 3, v0
	s_cbranch_execz .LBB40_15
; %bb.12:
	v_subrev_nc_u32_e32 v13, 32, v1
	s_mov_b32 s3, exec_lo
	ds_load_b64 v[14:15], v13
	s_wait_dscnt 0x0
	v_cmpx_eq_u64_e64 v[10:11], v[14:15]
	s_cbranch_execz .LBB40_14
; %bb.13:
	v_subrev_nc_u32_e32 v13, 64, v12
	ds_load_b128 v[14:17], v13
	s_wait_dscnt 0x0
	v_add_f64_e32 v[6:7], v[6:7], v[14:15]
	v_add_f64_e32 v[8:9], v[8:9], v[16:17]
.LBB40_14:
	s_or_b32 exec_lo, exec_lo, s3
.LBB40_15:
	s_delay_alu instid0(SALU_CYCLE_1) | instskip(NEXT) | instid1(SALU_CYCLE_1)
	s_or_b32 exec_lo, exec_lo, s2
	s_mov_b32 s2, exec_lo
	s_barrier_signal -1
	s_barrier_wait -1
	ds_store_b128 v12, v[6:9]
	s_wait_dscnt 0x0
	s_barrier_signal -1
	s_barrier_wait -1
	v_cmpx_lt_u32_e32 7, v0
	s_cbranch_execz .LBB40_19
; %bb.16:
	v_subrev_nc_u32_e32 v13, 64, v1
	s_mov_b32 s3, exec_lo
	ds_load_b64 v[14:15], v13
	s_wait_dscnt 0x0
	v_cmpx_eq_u64_e64 v[10:11], v[14:15]
	s_cbranch_execz .LBB40_18
; %bb.17:
	v_add_nc_u32_e32 v13, 0xffffff80, v12
	ds_load_b128 v[14:17], v13
	s_wait_dscnt 0x0
	v_add_f64_e32 v[6:7], v[6:7], v[14:15]
	v_add_f64_e32 v[8:9], v[8:9], v[16:17]
.LBB40_18:
	s_or_b32 exec_lo, exec_lo, s3
.LBB40_19:
	s_delay_alu instid0(SALU_CYCLE_1) | instskip(NEXT) | instid1(SALU_CYCLE_1)
	s_or_b32 exec_lo, exec_lo, s2
	s_mov_b32 s2, exec_lo
	s_barrier_signal -1
	s_barrier_wait -1
	ds_store_b128 v12, v[6:9]
	s_wait_dscnt 0x0
	s_barrier_signal -1
	s_barrier_wait -1
	v_cmpx_lt_u32_e32 15, v0
	s_cbranch_execz .LBB40_23
; %bb.20:
	v_add_nc_u32_e32 v13, 0xffffff80, v1
	s_mov_b32 s3, exec_lo
	ds_load_b64 v[14:15], v13
	s_wait_dscnt 0x0
	v_cmpx_eq_u64_e64 v[10:11], v[14:15]
	s_cbranch_execz .LBB40_22
; %bb.21:
	v_add_nc_u32_e32 v13, 0xffffff00, v12
	ds_load_b128 v[14:17], v13
	s_wait_dscnt 0x0
	v_add_f64_e32 v[6:7], v[6:7], v[14:15]
	v_add_f64_e32 v[8:9], v[8:9], v[16:17]
.LBB40_22:
	s_or_b32 exec_lo, exec_lo, s3
.LBB40_23:
	s_delay_alu instid0(SALU_CYCLE_1) | instskip(NEXT) | instid1(SALU_CYCLE_1)
	s_or_b32 exec_lo, exec_lo, s2
	s_mov_b32 s2, exec_lo
	s_barrier_signal -1
	s_barrier_wait -1
	ds_store_b128 v12, v[6:9]
	s_wait_dscnt 0x0
	s_barrier_signal -1
	s_barrier_wait -1
	v_cmpx_lt_u32_e32 31, v0
	s_cbranch_execz .LBB40_27
; %bb.24:
	v_add_nc_u32_e32 v13, 0xffffff00, v1
	s_mov_b32 s3, exec_lo
	ds_load_b64 v[14:15], v13
	s_wait_dscnt 0x0
	v_cmpx_eq_u64_e64 v[10:11], v[14:15]
	s_cbranch_execz .LBB40_26
; %bb.25:
	v_add_nc_u32_e32 v13, 0xfffffe00, v12
	ds_load_b128 v[14:17], v13
	s_wait_dscnt 0x0
	v_add_f64_e32 v[6:7], v[6:7], v[14:15]
	v_add_f64_e32 v[8:9], v[8:9], v[16:17]
.LBB40_26:
	s_or_b32 exec_lo, exec_lo, s3
.LBB40_27:
	;; [unrolled: 27-line block ×4, first 2 shown]
	s_delay_alu instid0(SALU_CYCLE_1)
	s_or_b32 exec_lo, exec_lo, s2
	s_load_b64 s[2:3], s[0:1], 0x38
	s_wait_xcnt 0x0
	s_mov_b32 s1, exec_lo
	s_barrier_signal -1
	s_barrier_wait -1
	ds_store_b128 v12, v[6:9]
	s_wait_dscnt 0x0
	s_barrier_signal -1
	s_barrier_wait -1
	v_cmpx_gt_u32_e32 0xff, v0
	s_cbranch_execz .LBB40_38
; %bb.36:
	ds_load_b64 v[12:13], v1 offset:8
	v_cmp_lt_i64_e64 s0, -1, v[10:11]
	s_wait_dscnt 0x0
	v_cmp_ne_u64_e32 vcc_lo, v[10:11], v[12:13]
	s_and_b32 s0, s0, vcc_lo
	s_delay_alu instid0(SALU_CYCLE_1)
	s_and_b32 exec_lo, exec_lo, s0
	s_cbranch_execz .LBB40_38
; %bb.37:
	v_mul_f64_e64 v[12:13], v[8:9], -v[4:5]
	v_mul_f64_e32 v[14:15], v[2:3], v[8:9]
	s_wait_kmcnt 0x0
	v_lshl_add_u64 v[16:17], v[10:11], 4, s[2:3]
	s_delay_alu instid0(VALU_DEP_3) | instskip(NEXT) | instid1(VALU_DEP_3)
	v_fmac_f64_e32 v[12:13], v[2:3], v[6:7]
	v_fmac_f64_e32 v[14:15], v[4:5], v[6:7]
	global_atomic_add_f64 v[16:17], v[12:13], off scope:SCOPE_DEV
	s_wait_xcnt 0x0
	global_atomic_add_f64 v[16:17], v[14:15], off offset:8 scope:SCOPE_DEV
.LBB40_38:
	s_wait_xcnt 0x0
	s_or_b32 exec_lo, exec_lo, s1
	v_cmp_lt_i64_e32 vcc_lo, -1, v[10:11]
	v_cmp_eq_u32_e64 s0, 0xff, v0
	s_and_b32 s0, s0, vcc_lo
	s_delay_alu instid0(SALU_CYCLE_1)
	s_and_b32 exec_lo, exec_lo, s0
	s_cbranch_execz .LBB40_40
; %bb.39:
	v_mul_f64_e64 v[0:1], v[8:9], -v[4:5]
	v_mul_f64_e32 v[8:9], v[2:3], v[8:9]
	s_delay_alu instid0(VALU_DEP_2) | instskip(NEXT) | instid1(VALU_DEP_2)
	v_fmac_f64_e32 v[0:1], v[2:3], v[6:7]
	v_fmac_f64_e32 v[8:9], v[4:5], v[6:7]
	s_wait_kmcnt 0x0
	v_lshl_add_u64 v[2:3], v[10:11], 4, s[2:3]
	global_atomic_add_f64 v[2:3], v[0:1], off scope:SCOPE_DEV
	s_wait_xcnt 0x0
	global_atomic_add_f64 v[2:3], v[8:9], off offset:8 scope:SCOPE_DEV
.LBB40_40:
	s_endpgm
	.section	.rodata,"a",@progbits
	.p2align	6, 0x0
	.amdhsa_kernel _ZN9rocsparseL19coomvn_atomic_loopsILj256ELj1El21rocsparse_complex_numIdES2_S2_S2_EEvlNS_24const_host_device_scalarIT5_EEPKT1_S8_PKT2_PKT3_PT4_21rocsparse_index_base_b
		.amdhsa_group_segment_fixed_size 6144
		.amdhsa_private_segment_fixed_size 0
		.amdhsa_kernarg_size 72
		.amdhsa_user_sgpr_count 2
		.amdhsa_user_sgpr_dispatch_ptr 0
		.amdhsa_user_sgpr_queue_ptr 0
		.amdhsa_user_sgpr_kernarg_segment_ptr 1
		.amdhsa_user_sgpr_dispatch_id 0
		.amdhsa_user_sgpr_kernarg_preload_length 0
		.amdhsa_user_sgpr_kernarg_preload_offset 0
		.amdhsa_user_sgpr_private_segment_size 0
		.amdhsa_wavefront_size32 1
		.amdhsa_uses_dynamic_stack 0
		.amdhsa_enable_private_segment 0
		.amdhsa_system_sgpr_workgroup_id_x 1
		.amdhsa_system_sgpr_workgroup_id_y 0
		.amdhsa_system_sgpr_workgroup_id_z 0
		.amdhsa_system_sgpr_workgroup_info 0
		.amdhsa_system_vgpr_workitem_id 0
		.amdhsa_next_free_vgpr 20
		.amdhsa_next_free_sgpr 20
		.amdhsa_named_barrier_count 0
		.amdhsa_reserve_vcc 1
		.amdhsa_float_round_mode_32 0
		.amdhsa_float_round_mode_16_64 0
		.amdhsa_float_denorm_mode_32 3
		.amdhsa_float_denorm_mode_16_64 3
		.amdhsa_fp16_overflow 0
		.amdhsa_memory_ordered 1
		.amdhsa_forward_progress 1
		.amdhsa_inst_pref_size 12
		.amdhsa_round_robin_scheduling 0
		.amdhsa_exception_fp_ieee_invalid_op 0
		.amdhsa_exception_fp_denorm_src 0
		.amdhsa_exception_fp_ieee_div_zero 0
		.amdhsa_exception_fp_ieee_overflow 0
		.amdhsa_exception_fp_ieee_underflow 0
		.amdhsa_exception_fp_ieee_inexact 0
		.amdhsa_exception_int_div_zero 0
	.end_amdhsa_kernel
	.section	.text._ZN9rocsparseL19coomvn_atomic_loopsILj256ELj1El21rocsparse_complex_numIdES2_S2_S2_EEvlNS_24const_host_device_scalarIT5_EEPKT1_S8_PKT2_PKT3_PT4_21rocsparse_index_base_b,"axG",@progbits,_ZN9rocsparseL19coomvn_atomic_loopsILj256ELj1El21rocsparse_complex_numIdES2_S2_S2_EEvlNS_24const_host_device_scalarIT5_EEPKT1_S8_PKT2_PKT3_PT4_21rocsparse_index_base_b,comdat
.Lfunc_end40:
	.size	_ZN9rocsparseL19coomvn_atomic_loopsILj256ELj1El21rocsparse_complex_numIdES2_S2_S2_EEvlNS_24const_host_device_scalarIT5_EEPKT1_S8_PKT2_PKT3_PT4_21rocsparse_index_base_b, .Lfunc_end40-_ZN9rocsparseL19coomvn_atomic_loopsILj256ELj1El21rocsparse_complex_numIdES2_S2_S2_EEvlNS_24const_host_device_scalarIT5_EEPKT1_S8_PKT2_PKT3_PT4_21rocsparse_index_base_b
                                        ; -- End function
	.set _ZN9rocsparseL19coomvn_atomic_loopsILj256ELj1El21rocsparse_complex_numIdES2_S2_S2_EEvlNS_24const_host_device_scalarIT5_EEPKT1_S8_PKT2_PKT3_PT4_21rocsparse_index_base_b.num_vgpr, 20
	.set _ZN9rocsparseL19coomvn_atomic_loopsILj256ELj1El21rocsparse_complex_numIdES2_S2_S2_EEvlNS_24const_host_device_scalarIT5_EEPKT1_S8_PKT2_PKT3_PT4_21rocsparse_index_base_b.num_agpr, 0
	.set _ZN9rocsparseL19coomvn_atomic_loopsILj256ELj1El21rocsparse_complex_numIdES2_S2_S2_EEvlNS_24const_host_device_scalarIT5_EEPKT1_S8_PKT2_PKT3_PT4_21rocsparse_index_base_b.numbered_sgpr, 20
	.set _ZN9rocsparseL19coomvn_atomic_loopsILj256ELj1El21rocsparse_complex_numIdES2_S2_S2_EEvlNS_24const_host_device_scalarIT5_EEPKT1_S8_PKT2_PKT3_PT4_21rocsparse_index_base_b.num_named_barrier, 0
	.set _ZN9rocsparseL19coomvn_atomic_loopsILj256ELj1El21rocsparse_complex_numIdES2_S2_S2_EEvlNS_24const_host_device_scalarIT5_EEPKT1_S8_PKT2_PKT3_PT4_21rocsparse_index_base_b.private_seg_size, 0
	.set _ZN9rocsparseL19coomvn_atomic_loopsILj256ELj1El21rocsparse_complex_numIdES2_S2_S2_EEvlNS_24const_host_device_scalarIT5_EEPKT1_S8_PKT2_PKT3_PT4_21rocsparse_index_base_b.uses_vcc, 1
	.set _ZN9rocsparseL19coomvn_atomic_loopsILj256ELj1El21rocsparse_complex_numIdES2_S2_S2_EEvlNS_24const_host_device_scalarIT5_EEPKT1_S8_PKT2_PKT3_PT4_21rocsparse_index_base_b.uses_flat_scratch, 0
	.set _ZN9rocsparseL19coomvn_atomic_loopsILj256ELj1El21rocsparse_complex_numIdES2_S2_S2_EEvlNS_24const_host_device_scalarIT5_EEPKT1_S8_PKT2_PKT3_PT4_21rocsparse_index_base_b.has_dyn_sized_stack, 0
	.set _ZN9rocsparseL19coomvn_atomic_loopsILj256ELj1El21rocsparse_complex_numIdES2_S2_S2_EEvlNS_24const_host_device_scalarIT5_EEPKT1_S8_PKT2_PKT3_PT4_21rocsparse_index_base_b.has_recursion, 0
	.set _ZN9rocsparseL19coomvn_atomic_loopsILj256ELj1El21rocsparse_complex_numIdES2_S2_S2_EEvlNS_24const_host_device_scalarIT5_EEPKT1_S8_PKT2_PKT3_PT4_21rocsparse_index_base_b.has_indirect_call, 0
	.section	.AMDGPU.csdata,"",@progbits
; Kernel info:
; codeLenInByte = 1516
; TotalNumSgprs: 22
; NumVgprs: 20
; ScratchSize: 0
; MemoryBound: 1
; FloatMode: 240
; IeeeMode: 1
; LDSByteSize: 6144 bytes/workgroup (compile time only)
; SGPRBlocks: 0
; VGPRBlocks: 1
; NumSGPRsForWavesPerEU: 22
; NumVGPRsForWavesPerEU: 20
; NamedBarCnt: 0
; Occupancy: 16
; WaveLimiterHint : 1
; COMPUTE_PGM_RSRC2:SCRATCH_EN: 0
; COMPUTE_PGM_RSRC2:USER_SGPR: 2
; COMPUTE_PGM_RSRC2:TRAP_HANDLER: 0
; COMPUTE_PGM_RSRC2:TGID_X_EN: 1
; COMPUTE_PGM_RSRC2:TGID_Y_EN: 0
; COMPUTE_PGM_RSRC2:TGID_Z_EN: 0
; COMPUTE_PGM_RSRC2:TIDIG_COMP_CNT: 0
	.section	.text._ZN9rocsparseL19coomvn_atomic_loopsILj256ELj2El21rocsparse_complex_numIdES2_S2_S2_EEvlNS_24const_host_device_scalarIT5_EEPKT1_S8_PKT2_PKT3_PT4_21rocsparse_index_base_b,"axG",@progbits,_ZN9rocsparseL19coomvn_atomic_loopsILj256ELj2El21rocsparse_complex_numIdES2_S2_S2_EEvlNS_24const_host_device_scalarIT5_EEPKT1_S8_PKT2_PKT3_PT4_21rocsparse_index_base_b,comdat
	.globl	_ZN9rocsparseL19coomvn_atomic_loopsILj256ELj2El21rocsparse_complex_numIdES2_S2_S2_EEvlNS_24const_host_device_scalarIT5_EEPKT1_S8_PKT2_PKT3_PT4_21rocsparse_index_base_b ; -- Begin function _ZN9rocsparseL19coomvn_atomic_loopsILj256ELj2El21rocsparse_complex_numIdES2_S2_S2_EEvlNS_24const_host_device_scalarIT5_EEPKT1_S8_PKT2_PKT3_PT4_21rocsparse_index_base_b
	.p2align	8
	.type	_ZN9rocsparseL19coomvn_atomic_loopsILj256ELj2El21rocsparse_complex_numIdES2_S2_S2_EEvlNS_24const_host_device_scalarIT5_EEPKT1_S8_PKT2_PKT3_PT4_21rocsparse_index_base_b,@function
_ZN9rocsparseL19coomvn_atomic_loopsILj256ELj2El21rocsparse_complex_numIdES2_S2_S2_EEvlNS_24const_host_device_scalarIT5_EEPKT1_S8_PKT2_PKT3_PT4_21rocsparse_index_base_b: ; @_ZN9rocsparseL19coomvn_atomic_loopsILj256ELj2El21rocsparse_complex_numIdES2_S2_S2_EEvlNS_24const_host_device_scalarIT5_EEPKT1_S8_PKT2_PKT3_PT4_21rocsparse_index_base_b
; %bb.0:
	s_clause 0x1
	s_load_b64 s[24:25], s[0:1], 0x40
	s_load_b128 s[20:23], s[0:1], 0x0
	v_mov_b32_e32 v11, 0
	s_or_b64 s[2:3], s[0:1], 8
	s_wait_kmcnt 0x0
	s_bitcmp1_b32 s25, 0
	s_cselect_b32 s3, s3, s23
	s_cselect_b32 s2, s2, s22
	flat_load_b128 v[2:5], v11, s[2:3]
	s_wait_loadcnt_dscnt 0x0
	v_cmp_neq_f64_e32 vcc_lo, 0, v[2:3]
	v_cmp_neq_f64_e64 s2, 0, v[4:5]
	s_or_b32 s2, vcc_lo, s2
	s_delay_alu instid0(SALU_CYCLE_1)
	s_and_saveexec_b32 s3, s2
	s_cbranch_execz .LBB41_92
; %bb.1:
	s_load_b256 s[12:19], s[0:1], 0x18
	s_bfe_u32 s2, ttmp6, 0x4000c
	s_and_b32 s3, ttmp6, 15
	s_add_co_i32 s2, s2, 1
	s_getreg_b32 s4, hwreg(HW_REG_IB_STS2, 6, 4)
	s_mul_i32 s2, ttmp9, s2
	v_mov_b64_e32 v[6:7], 0
	s_add_co_i32 s3, s3, s2
	s_cmp_eq_u32 s4, 0
	v_mov_b64_e32 v[14:15], -1
	s_cselect_b32 s2, ttmp9, s3
	s_mov_b32 s25, 0
	v_lshl_or_b32 v10, s2, 9, v0
	v_mov_b64_e32 v[8:9], v[6:7]
	s_mov_b32 s2, exec_lo
	s_delay_alu instid0(VALU_DEP_2)
	v_lshlrev_b64_e32 v[12:13], 3, v[10:11]
	s_wait_kmcnt 0x0
	v_lshl_add_u64 v[16:17], v[10:11], 4, s[16:17]
	v_cmpx_gt_i64_e64 s[20:21], v[10:11]
	s_cbranch_execz .LBB41_3
; %bb.2:
	s_delay_alu instid0(VALU_DEP_3) | instskip(SKIP_3) | instid1(VALU_DEP_1)
	v_add_nc_u64_e32 v[6:7], s[14:15], v[12:13]
	global_load_b64 v[6:7], v[6:7], off th:TH_LOAD_NT
	s_wait_loadcnt 0x0
	v_sub_nc_u64_e64 v[6:7], v[6:7], s[24:25]
	v_lshl_add_u64 v[6:7], v[6:7], 4, s[18:19]
	global_load_b128 v[18:21], v[16:17], off th:TH_LOAD_NT
	global_load_b128 v[22:25], v[6:7], off
	s_wait_xcnt 0x0
	v_add_nc_u64_e32 v[6:7], s[12:13], v[12:13]
	global_load_b64 v[14:15], v[6:7], off th:TH_LOAD_NT
	s_wait_loadcnt 0x1
	s_wait_xcnt 0x0
	v_mul_f64_e64 v[6:7], v[24:25], -v[20:21]
	v_mul_f64_e32 v[8:9], v[18:19], v[24:25]
	s_wait_loadcnt 0x0
	v_sub_nc_u64_e64 v[14:15], v[14:15], s[24:25]
	s_delay_alu instid0(VALU_DEP_3) | instskip(NEXT) | instid1(VALU_DEP_3)
	v_fmac_f64_e32 v[6:7], v[18:19], v[22:23]
	v_fmac_f64_e32 v[8:9], v[20:21], v[22:23]
.LBB41_3:
	s_or_b32 exec_lo, exec_lo, s2
	v_dual_lshlrev_b32 v18, 3, v0 :: v_dual_lshlrev_b32 v22, 4, v0
	v_cmp_ne_u32_e64 s2, 0, v0
	v_cmp_eq_u32_e32 vcc_lo, 0, v0
	ds_store_b64 v18, v[14:15] offset:4096
	ds_store_b128 v22, v[6:9]
	v_or_b32_e32 v1, 0x1000, v18
	s_wait_dscnt 0x0
	s_barrier_signal -1
	s_barrier_wait -1
	s_delay_alu instid0(VALU_DEP_1)
	v_add_nc_u32_e32 v23, -8, v1
	s_and_saveexec_b32 s4, s2
	s_cbranch_execz .LBB41_7
; %bb.4:
	ds_load_b64 v[18:19], v23
	s_mov_b32 s5, exec_lo
	s_wait_dscnt 0x0
	v_cmpx_eq_u64_e64 v[14:15], v[18:19]
	s_cbranch_execz .LBB41_6
; %bb.5:
	v_add_nc_u32_e32 v18, -16, v22
	ds_load_b128 v[18:21], v18
	s_wait_dscnt 0x0
	v_add_f64_e32 v[6:7], v[6:7], v[18:19]
	v_add_f64_e32 v[8:9], v[8:9], v[20:21]
.LBB41_6:
	s_or_b32 exec_lo, exec_lo, s5
.LBB41_7:
	s_delay_alu instid0(SALU_CYCLE_1)
	s_or_b32 exec_lo, exec_lo, s4
	v_cmp_lt_u32_e64 s3, 1, v0
	v_add_nc_u32_e32 v24, -16, v1
	s_barrier_signal -1
	s_barrier_wait -1
	ds_store_b128 v22, v[6:9]
	s_wait_dscnt 0x0
	s_barrier_signal -1
	s_barrier_wait -1
	s_and_saveexec_b32 s5, s3
	s_cbranch_execz .LBB41_11
; %bb.8:
	ds_load_b64 v[18:19], v24
	s_mov_b32 s6, exec_lo
	s_wait_dscnt 0x0
	v_cmpx_eq_u64_e64 v[14:15], v[18:19]
	s_cbranch_execz .LBB41_10
; %bb.9:
	v_subrev_nc_u32_e32 v18, 32, v22
	ds_load_b128 v[18:21], v18
	s_wait_dscnt 0x0
	v_add_f64_e32 v[6:7], v[6:7], v[18:19]
	v_add_f64_e32 v[8:9], v[8:9], v[20:21]
.LBB41_10:
	s_or_b32 exec_lo, exec_lo, s6
.LBB41_11:
	s_delay_alu instid0(SALU_CYCLE_1)
	s_or_b32 exec_lo, exec_lo, s5
	v_cmp_lt_u32_e64 s4, 3, v0
	v_subrev_nc_u32_e32 v25, 32, v1
	s_barrier_signal -1
	s_barrier_wait -1
	ds_store_b128 v22, v[6:9]
	s_wait_dscnt 0x0
	s_barrier_signal -1
	s_barrier_wait -1
	s_and_saveexec_b32 s6, s4
	s_cbranch_execz .LBB41_15
; %bb.12:
	ds_load_b64 v[18:19], v25
	s_mov_b32 s7, exec_lo
	s_wait_dscnt 0x0
	v_cmpx_eq_u64_e64 v[14:15], v[18:19]
	s_cbranch_execz .LBB41_14
; %bb.13:
	v_subrev_nc_u32_e32 v18, 64, v22
	ds_load_b128 v[18:21], v18
	s_wait_dscnt 0x0
	v_add_f64_e32 v[6:7], v[6:7], v[18:19]
	v_add_f64_e32 v[8:9], v[8:9], v[20:21]
.LBB41_14:
	s_or_b32 exec_lo, exec_lo, s7
.LBB41_15:
	s_delay_alu instid0(SALU_CYCLE_1)
	s_or_b32 exec_lo, exec_lo, s6
	v_cmp_lt_u32_e64 s5, 7, v0
	v_subrev_nc_u32_e32 v26, 64, v1
	s_barrier_signal -1
	s_barrier_wait -1
	ds_store_b128 v22, v[6:9]
	s_wait_dscnt 0x0
	s_barrier_signal -1
	s_barrier_wait -1
	s_and_saveexec_b32 s7, s5
	s_cbranch_execz .LBB41_19
; %bb.16:
	ds_load_b64 v[18:19], v26
	s_mov_b32 s8, exec_lo
	s_wait_dscnt 0x0
	v_cmpx_eq_u64_e64 v[14:15], v[18:19]
	s_cbranch_execz .LBB41_18
; %bb.17:
	v_add_nc_u32_e32 v18, 0xffffff80, v22
	ds_load_b128 v[18:21], v18
	s_wait_dscnt 0x0
	v_add_f64_e32 v[6:7], v[6:7], v[18:19]
	v_add_f64_e32 v[8:9], v[8:9], v[20:21]
.LBB41_18:
	s_or_b32 exec_lo, exec_lo, s8
.LBB41_19:
	s_delay_alu instid0(SALU_CYCLE_1)
	s_or_b32 exec_lo, exec_lo, s7
	v_cmp_lt_u32_e64 s6, 15, v0
	v_add_nc_u32_e32 v27, 0xffffff80, v1
	s_barrier_signal -1
	s_barrier_wait -1
	ds_store_b128 v22, v[6:9]
	s_wait_dscnt 0x0
	s_barrier_signal -1
	s_barrier_wait -1
	s_and_saveexec_b32 s8, s6
	s_cbranch_execz .LBB41_23
; %bb.20:
	ds_load_b64 v[18:19], v27
	s_mov_b32 s9, exec_lo
	s_wait_dscnt 0x0
	v_cmpx_eq_u64_e64 v[14:15], v[18:19]
	s_cbranch_execz .LBB41_22
; %bb.21:
	v_add_nc_u32_e32 v18, 0xffffff00, v22
	ds_load_b128 v[18:21], v18
	s_wait_dscnt 0x0
	v_add_f64_e32 v[6:7], v[6:7], v[18:19]
	v_add_f64_e32 v[8:9], v[8:9], v[20:21]
.LBB41_22:
	s_or_b32 exec_lo, exec_lo, s9
.LBB41_23:
	s_delay_alu instid0(SALU_CYCLE_1)
	s_or_b32 exec_lo, exec_lo, s8
	v_cmp_lt_u32_e64 s7, 31, v0
	v_add_nc_u32_e32 v28, 0xffffff00, v1
	;; [unrolled: 27-line block ×4, first 2 shown]
	s_barrier_signal -1
	s_barrier_wait -1
	ds_store_b128 v22, v[6:9]
	s_wait_dscnt 0x0
	s_barrier_signal -1
	s_barrier_wait -1
	s_and_saveexec_b32 s11, s9
	s_cbranch_execz .LBB41_35
; %bb.32:
	ds_load_b64 v[18:19], v30
	s_mov_b32 s16, exec_lo
	s_wait_dscnt 0x0
	v_cmpx_eq_u64_e64 v[14:15], v[18:19]
	s_cbranch_execz .LBB41_34
; %bb.33:
	v_add_nc_u32_e32 v18, 0xfffff800, v22
	ds_load_b128 v[18:21], v18
	s_wait_dscnt 0x0
	v_add_f64_e32 v[6:7], v[6:7], v[18:19]
	v_add_f64_e32 v[8:9], v[8:9], v[20:21]
.LBB41_34:
	s_or_b32 exec_lo, exec_lo, s16
.LBB41_35:
	s_delay_alu instid0(SALU_CYCLE_1)
	s_or_b32 exec_lo, exec_lo, s11
	s_load_b64 s[16:17], s[0:1], 0x38
	s_wait_xcnt 0x0
	v_cmp_gt_u32_e64 s0, 0xff, v0
	s_barrier_signal -1
	s_barrier_wait -1
	ds_store_b128 v22, v[6:9]
	s_wait_dscnt 0x0
	s_barrier_signal -1
	s_barrier_wait -1
	s_and_saveexec_b32 s11, s0
	s_cbranch_execz .LBB41_38
; %bb.36:
	ds_load_b64 v[18:19], v1 offset:8
	v_cmp_lt_i64_e64 s10, -1, v[14:15]
	s_wait_dscnt 0x0
	v_cmp_ne_u64_e64 s1, v[14:15], v[18:19]
	s_and_b32 s1, s10, s1
	s_delay_alu instid0(SALU_CYCLE_1)
	s_and_b32 exec_lo, exec_lo, s1
	s_cbranch_execz .LBB41_38
; %bb.37:
	v_mul_f64_e64 v[18:19], v[8:9], -v[4:5]
	v_mul_f64_e32 v[8:9], v[2:3], v[8:9]
	s_delay_alu instid0(VALU_DEP_2) | instskip(NEXT) | instid1(VALU_DEP_2)
	v_fmac_f64_e32 v[18:19], v[2:3], v[6:7]
	v_fmac_f64_e32 v[8:9], v[4:5], v[6:7]
	s_wait_kmcnt 0x0
	v_lshl_add_u64 v[6:7], v[14:15], 4, s[16:17]
	global_atomic_add_f64 v[6:7], v[18:19], off scope:SCOPE_DEV
	s_wait_xcnt 0x0
	global_atomic_add_f64 v[6:7], v[8:9], off offset:8 scope:SCOPE_DEV
.LBB41_38:
	s_wait_xcnt 0x0
	s_or_b32 exec_lo, exec_lo, s11
	v_add_nc_u64_e32 v[8:9], 0x100, v[10:11]
	v_mov_b64_e32 v[14:15], -1
	v_mov_b64_e32 v[6:7], 0
	s_delay_alu instid0(VALU_DEP_3)
	v_cmp_gt_i64_e64 s1, s[20:21], v[8:9]
	v_mov_b64_e32 v[8:9], 0
	s_and_saveexec_b32 s10, s1
	s_cbranch_execz .LBB41_40
; %bb.39:
	v_add_nc_u64_e32 v[6:7], s[14:15], v[12:13]
	global_load_b64 v[6:7], v[6:7], off offset:2048 th:TH_LOAD_NT
	s_wait_loadcnt 0x0
	v_sub_nc_u64_e64 v[6:7], v[6:7], s[24:25]
	s_delay_alu instid0(VALU_DEP_1)
	v_lshl_add_u64 v[6:7], v[6:7], 4, s[18:19]
	global_load_b128 v[18:21], v[16:17], off offset:4096 th:TH_LOAD_NT
	global_load_b128 v[32:35], v[6:7], off
	s_wait_xcnt 0x0
	v_add_nc_u64_e32 v[6:7], s[12:13], v[12:13]
	global_load_b64 v[10:11], v[6:7], off offset:2048 th:TH_LOAD_NT
	s_wait_loadcnt 0x1
	s_wait_xcnt 0x0
	v_mul_f64_e64 v[6:7], v[34:35], -v[20:21]
	v_mul_f64_e32 v[8:9], v[18:19], v[34:35]
	s_wait_loadcnt 0x0
	v_sub_nc_u64_e64 v[14:15], v[10:11], s[24:25]
	s_delay_alu instid0(VALU_DEP_3) | instskip(NEXT) | instid1(VALU_DEP_3)
	v_fmac_f64_e32 v[6:7], v[18:19], v[32:33]
	v_fmac_f64_e32 v[8:9], v[20:21], v[32:33]
.LBB41_40:
	s_or_b32 exec_lo, exec_lo, s10
	s_and_saveexec_b32 s1, vcc_lo
	s_cbranch_execz .LBB41_55
; %bb.41:
	v_mov_b32_e32 v10, 0
	s_mov_b32 s10, exec_lo
	ds_load_b64 v[16:17], v10 offset:6136
	s_wait_dscnt 0x0
	v_cmpx_ne_u64_e64 v[14:15], v[16:17]
	s_xor_b32 s10, exec_lo, s10
	s_cbranch_execz .LBB41_52
; %bb.42:
	v_cmp_gt_i64_e32 vcc_lo, 0, v[16:17]
	s_cbranch_vccnz .LBB41_52
; %bb.43:
	v_mov_b32_e32 v10, 0
	v_mov_b64_e32 v[18:19], 0x8000000000000000
	s_mov_b32 s11, exec_lo
	ds_load_b128 v[10:13], v10 offset:4080
	s_wait_dscnt 0x0
	v_mul_f64_e64 v[20:21], v[12:13], -v[4:5]
	s_delay_alu instid0(VALU_DEP_1)
	v_fmac_f64_e32 v[20:21], v[2:3], v[10:11]
.LBB41_44:                              ; =>This Inner Loop Header: Depth=1
	s_ctz_i32_b32 s14, s11
	s_delay_alu instid0(VALU_DEP_1) | instid1(SALU_CYCLE_1)
	v_readlane_b32 s13, v21, s14
	s_delay_alu instid0(VALU_DEP_2) | instskip(NEXT) | instid1(VALU_DEP_1)
	v_readlane_b32 s12, v20, s14
	v_add_f64_e32 v[18:19], s[12:13], v[18:19]
	s_lshl_b32 s12, 1, s14
	s_delay_alu instid0(SALU_CYCLE_1) | instskip(NEXT) | instid1(SALU_CYCLE_1)
	s_and_not1_b32 s11, s11, s12
	s_cmp_lg_u32 s11, 0
	s_cbranch_scc1 .LBB41_44
; %bb.45:
	v_lshlrev_b64_e32 v[16:17], 4, v[16:17]
	v_mbcnt_lo_u32_b32 v20, exec_lo, 0
	s_mov_b32 s11, exec_lo
	s_wait_kmcnt 0x0
	s_delay_alu instid0(VALU_DEP_2) | instskip(NEXT) | instid1(VALU_DEP_2)
	v_add_nc_u64_e32 v[16:17], s[16:17], v[16:17]
	v_cmpx_eq_u32_e32 0, v20
	s_xor_b32 s11, exec_lo, s11
	s_cbranch_execz .LBB41_47
; %bb.46:
	global_atomic_add_f64 v[16:17], v[18:19], off scope:SCOPE_DEV
.LBB41_47:
	s_wait_xcnt 0x0
	s_or_b32 exec_lo, exec_lo, s11
	v_mul_f64_e32 v[12:13], v[2:3], v[12:13]
	s_mov_b32 s11, exec_lo
	s_delay_alu instid0(VALU_DEP_1)
	v_fmac_f64_e32 v[12:13], v[4:5], v[10:11]
	v_mov_b64_e32 v[10:11], 0x8000000000000000
.LBB41_48:                              ; =>This Inner Loop Header: Depth=1
	s_ctz_i32_b32 s14, s11
	s_delay_alu instid0(VALU_DEP_2) | instid1(SALU_CYCLE_1)
	v_readlane_b32 s13, v13, s14
	s_delay_alu instid0(VALU_DEP_3) | instskip(NEXT) | instid1(VALU_DEP_1)
	v_readlane_b32 s12, v12, s14
	v_add_f64_e32 v[10:11], s[12:13], v[10:11]
	s_lshl_b32 s12, 1, s14
	s_delay_alu instid0(SALU_CYCLE_1) | instskip(NEXT) | instid1(SALU_CYCLE_1)
	s_and_not1_b32 s11, s11, s12
	s_cmp_lg_u32 s11, 0
	s_cbranch_scc1 .LBB41_48
; %bb.49:
	v_mbcnt_lo_u32_b32 v12, exec_lo, 0
	s_mov_b32 s11, exec_lo
	s_delay_alu instid0(VALU_DEP_1)
	v_cmpx_eq_u32_e32 0, v12
	s_xor_b32 s11, exec_lo, s11
	s_cbranch_execz .LBB41_51
; %bb.50:
	global_atomic_add_f64 v[16:17], v[10:11], off offset:8 scope:SCOPE_DEV
.LBB41_51:
	s_wait_xcnt 0x0
	s_or_b32 exec_lo, exec_lo, s11
.LBB41_52:
	s_and_not1_saveexec_b32 s10, s10
	s_cbranch_execz .LBB41_54
; %bb.53:
	v_mov_b32_e32 v10, 0
	ds_load_b128 v[10:13], v10 offset:4080
	s_wait_dscnt 0x0
	v_add_f64_e32 v[6:7], v[6:7], v[10:11]
	v_add_f64_e32 v[8:9], v[8:9], v[12:13]
.LBB41_54:
	s_or_b32 exec_lo, exec_lo, s10
.LBB41_55:
	s_delay_alu instid0(SALU_CYCLE_1)
	s_or_b32 exec_lo, exec_lo, s1
	s_wait_storecnt 0x0
	s_barrier_signal -1
	s_barrier_wait -1
	ds_store_b64 v1, v[14:15]
	ds_store_b128 v22, v[6:9]
	s_wait_dscnt 0x0
	s_barrier_signal -1
	s_barrier_wait -1
	s_and_saveexec_b32 s1, s2
	s_cbranch_execz .LBB41_59
; %bb.56:
	ds_load_b64 v[10:11], v23
	s_mov_b32 s2, exec_lo
	s_wait_dscnt 0x0
	v_cmpx_eq_u64_e64 v[14:15], v[10:11]
	s_cbranch_execz .LBB41_58
; %bb.57:
	v_add_nc_u32_e32 v10, -16, v22
	ds_load_b128 v[10:13], v10
	s_wait_dscnt 0x0
	v_add_f64_e32 v[6:7], v[6:7], v[10:11]
	v_add_f64_e32 v[8:9], v[8:9], v[12:13]
.LBB41_58:
	s_or_b32 exec_lo, exec_lo, s2
.LBB41_59:
	s_delay_alu instid0(SALU_CYCLE_1)
	s_or_b32 exec_lo, exec_lo, s1
	s_barrier_signal -1
	s_barrier_wait -1
	ds_store_b128 v22, v[6:9]
	s_wait_dscnt 0x0
	s_barrier_signal -1
	s_barrier_wait -1
	s_and_saveexec_b32 s1, s3
	s_cbranch_execz .LBB41_63
; %bb.60:
	ds_load_b64 v[10:11], v24
	s_mov_b32 s2, exec_lo
	s_wait_dscnt 0x0
	v_cmpx_eq_u64_e64 v[14:15], v[10:11]
	s_cbranch_execz .LBB41_62
; %bb.61:
	v_subrev_nc_u32_e32 v10, 32, v22
	ds_load_b128 v[10:13], v10
	s_wait_dscnt 0x0
	v_add_f64_e32 v[6:7], v[6:7], v[10:11]
	v_add_f64_e32 v[8:9], v[8:9], v[12:13]
.LBB41_62:
	s_or_b32 exec_lo, exec_lo, s2
.LBB41_63:
	s_delay_alu instid0(SALU_CYCLE_1)
	s_or_b32 exec_lo, exec_lo, s1
	s_barrier_signal -1
	s_barrier_wait -1
	ds_store_b128 v22, v[6:9]
	s_wait_dscnt 0x0
	s_barrier_signal -1
	s_barrier_wait -1
	s_and_saveexec_b32 s1, s4
	s_cbranch_execz .LBB41_67
; %bb.64:
	ds_load_b64 v[10:11], v25
	s_mov_b32 s2, exec_lo
	s_wait_dscnt 0x0
	v_cmpx_eq_u64_e64 v[14:15], v[10:11]
	s_cbranch_execz .LBB41_66
; %bb.65:
	v_subrev_nc_u32_e32 v10, 64, v22
	ds_load_b128 v[10:13], v10
	s_wait_dscnt 0x0
	v_add_f64_e32 v[6:7], v[6:7], v[10:11]
	v_add_f64_e32 v[8:9], v[8:9], v[12:13]
.LBB41_66:
	s_or_b32 exec_lo, exec_lo, s2
.LBB41_67:
	s_delay_alu instid0(SALU_CYCLE_1)
	s_or_b32 exec_lo, exec_lo, s1
	s_barrier_signal -1
	s_barrier_wait -1
	ds_store_b128 v22, v[6:9]
	s_wait_dscnt 0x0
	s_barrier_signal -1
	s_barrier_wait -1
	s_and_saveexec_b32 s1, s5
	s_cbranch_execz .LBB41_71
; %bb.68:
	ds_load_b64 v[10:11], v26
	s_mov_b32 s2, exec_lo
	s_wait_dscnt 0x0
	v_cmpx_eq_u64_e64 v[14:15], v[10:11]
	s_cbranch_execz .LBB41_70
; %bb.69:
	v_add_nc_u32_e32 v10, 0xffffff80, v22
	ds_load_b128 v[10:13], v10
	s_wait_dscnt 0x0
	v_add_f64_e32 v[6:7], v[6:7], v[10:11]
	v_add_f64_e32 v[8:9], v[8:9], v[12:13]
.LBB41_70:
	s_or_b32 exec_lo, exec_lo, s2
.LBB41_71:
	s_delay_alu instid0(SALU_CYCLE_1)
	s_or_b32 exec_lo, exec_lo, s1
	s_barrier_signal -1
	s_barrier_wait -1
	ds_store_b128 v22, v[6:9]
	s_wait_dscnt 0x0
	s_barrier_signal -1
	s_barrier_wait -1
	s_and_saveexec_b32 s1, s6
	s_cbranch_execz .LBB41_75
; %bb.72:
	ds_load_b64 v[10:11], v27
	s_mov_b32 s2, exec_lo
	s_wait_dscnt 0x0
	v_cmpx_eq_u64_e64 v[14:15], v[10:11]
	s_cbranch_execz .LBB41_74
; %bb.73:
	v_add_nc_u32_e32 v10, 0xffffff00, v22
	ds_load_b128 v[10:13], v10
	s_wait_dscnt 0x0
	v_add_f64_e32 v[6:7], v[6:7], v[10:11]
	v_add_f64_e32 v[8:9], v[8:9], v[12:13]
.LBB41_74:
	s_or_b32 exec_lo, exec_lo, s2
.LBB41_75:
	;; [unrolled: 25-line block ×5, first 2 shown]
	s_delay_alu instid0(SALU_CYCLE_1)
	s_or_b32 exec_lo, exec_lo, s1
	s_barrier_signal -1
	s_barrier_wait -1
	ds_store_b128 v22, v[6:9]
	s_wait_dscnt 0x0
	s_barrier_signal -1
	s_barrier_wait -1
	s_and_saveexec_b32 s1, s0
	s_cbranch_execz .LBB41_90
; %bb.88:
	ds_load_b64 v[10:11], v1 offset:8
	v_cmp_lt_i64_e64 s0, -1, v[14:15]
	s_wait_dscnt 0x0
	v_cmp_ne_u64_e32 vcc_lo, v[14:15], v[10:11]
	s_and_b32 s0, s0, vcc_lo
	s_delay_alu instid0(SALU_CYCLE_1)
	s_and_b32 exec_lo, exec_lo, s0
	s_cbranch_execz .LBB41_90
; %bb.89:
	v_mul_f64_e64 v[10:11], v[8:9], -v[4:5]
	v_mul_f64_e32 v[12:13], v[2:3], v[8:9]
	s_wait_kmcnt 0x0
	v_lshl_add_u64 v[16:17], v[14:15], 4, s[16:17]
	s_delay_alu instid0(VALU_DEP_3) | instskip(NEXT) | instid1(VALU_DEP_3)
	v_fmac_f64_e32 v[10:11], v[2:3], v[6:7]
	v_fmac_f64_e32 v[12:13], v[4:5], v[6:7]
	global_atomic_add_f64 v[16:17], v[10:11], off scope:SCOPE_DEV
	s_wait_xcnt 0x0
	global_atomic_add_f64 v[16:17], v[12:13], off offset:8 scope:SCOPE_DEV
.LBB41_90:
	s_wait_xcnt 0x0
	s_or_b32 exec_lo, exec_lo, s1
	v_cmp_lt_i64_e32 vcc_lo, -1, v[14:15]
	v_cmp_eq_u32_e64 s0, 0xff, v0
	s_and_b32 s0, s0, vcc_lo
	s_delay_alu instid0(SALU_CYCLE_1)
	s_and_b32 exec_lo, exec_lo, s0
	s_cbranch_execz .LBB41_92
; %bb.91:
	v_mul_f64_e64 v[0:1], v[8:9], -v[4:5]
	v_mul_f64_e32 v[8:9], v[2:3], v[8:9]
	s_delay_alu instid0(VALU_DEP_2) | instskip(NEXT) | instid1(VALU_DEP_2)
	v_fmac_f64_e32 v[0:1], v[2:3], v[6:7]
	v_fmac_f64_e32 v[8:9], v[4:5], v[6:7]
	s_wait_kmcnt 0x0
	v_lshl_add_u64 v[2:3], v[14:15], 4, s[16:17]
	global_atomic_add_f64 v[2:3], v[0:1], off scope:SCOPE_DEV
	s_wait_xcnt 0x0
	global_atomic_add_f64 v[2:3], v[8:9], off offset:8 scope:SCOPE_DEV
.LBB41_92:
	s_endpgm
	.section	.rodata,"a",@progbits
	.p2align	6, 0x0
	.amdhsa_kernel _ZN9rocsparseL19coomvn_atomic_loopsILj256ELj2El21rocsparse_complex_numIdES2_S2_S2_EEvlNS_24const_host_device_scalarIT5_EEPKT1_S8_PKT2_PKT3_PT4_21rocsparse_index_base_b
		.amdhsa_group_segment_fixed_size 6144
		.amdhsa_private_segment_fixed_size 0
		.amdhsa_kernarg_size 72
		.amdhsa_user_sgpr_count 2
		.amdhsa_user_sgpr_dispatch_ptr 0
		.amdhsa_user_sgpr_queue_ptr 0
		.amdhsa_user_sgpr_kernarg_segment_ptr 1
		.amdhsa_user_sgpr_dispatch_id 0
		.amdhsa_user_sgpr_kernarg_preload_length 0
		.amdhsa_user_sgpr_kernarg_preload_offset 0
		.amdhsa_user_sgpr_private_segment_size 0
		.amdhsa_wavefront_size32 1
		.amdhsa_uses_dynamic_stack 0
		.amdhsa_enable_private_segment 0
		.amdhsa_system_sgpr_workgroup_id_x 1
		.amdhsa_system_sgpr_workgroup_id_y 0
		.amdhsa_system_sgpr_workgroup_id_z 0
		.amdhsa_system_sgpr_workgroup_info 0
		.amdhsa_system_vgpr_workitem_id 0
		.amdhsa_next_free_vgpr 36
		.amdhsa_next_free_sgpr 26
		.amdhsa_named_barrier_count 0
		.amdhsa_reserve_vcc 1
		.amdhsa_float_round_mode_32 0
		.amdhsa_float_round_mode_16_64 0
		.amdhsa_float_denorm_mode_32 3
		.amdhsa_float_denorm_mode_16_64 3
		.amdhsa_fp16_overflow 0
		.amdhsa_memory_ordered 1
		.amdhsa_forward_progress 1
		.amdhsa_inst_pref_size 25
		.amdhsa_round_robin_scheduling 0
		.amdhsa_exception_fp_ieee_invalid_op 0
		.amdhsa_exception_fp_denorm_src 0
		.amdhsa_exception_fp_ieee_div_zero 0
		.amdhsa_exception_fp_ieee_overflow 0
		.amdhsa_exception_fp_ieee_underflow 0
		.amdhsa_exception_fp_ieee_inexact 0
		.amdhsa_exception_int_div_zero 0
	.end_amdhsa_kernel
	.section	.text._ZN9rocsparseL19coomvn_atomic_loopsILj256ELj2El21rocsparse_complex_numIdES2_S2_S2_EEvlNS_24const_host_device_scalarIT5_EEPKT1_S8_PKT2_PKT3_PT4_21rocsparse_index_base_b,"axG",@progbits,_ZN9rocsparseL19coomvn_atomic_loopsILj256ELj2El21rocsparse_complex_numIdES2_S2_S2_EEvlNS_24const_host_device_scalarIT5_EEPKT1_S8_PKT2_PKT3_PT4_21rocsparse_index_base_b,comdat
.Lfunc_end41:
	.size	_ZN9rocsparseL19coomvn_atomic_loopsILj256ELj2El21rocsparse_complex_numIdES2_S2_S2_EEvlNS_24const_host_device_scalarIT5_EEPKT1_S8_PKT2_PKT3_PT4_21rocsparse_index_base_b, .Lfunc_end41-_ZN9rocsparseL19coomvn_atomic_loopsILj256ELj2El21rocsparse_complex_numIdES2_S2_S2_EEvlNS_24const_host_device_scalarIT5_EEPKT1_S8_PKT2_PKT3_PT4_21rocsparse_index_base_b
                                        ; -- End function
	.set _ZN9rocsparseL19coomvn_atomic_loopsILj256ELj2El21rocsparse_complex_numIdES2_S2_S2_EEvlNS_24const_host_device_scalarIT5_EEPKT1_S8_PKT2_PKT3_PT4_21rocsparse_index_base_b.num_vgpr, 36
	.set _ZN9rocsparseL19coomvn_atomic_loopsILj256ELj2El21rocsparse_complex_numIdES2_S2_S2_EEvlNS_24const_host_device_scalarIT5_EEPKT1_S8_PKT2_PKT3_PT4_21rocsparse_index_base_b.num_agpr, 0
	.set _ZN9rocsparseL19coomvn_atomic_loopsILj256ELj2El21rocsparse_complex_numIdES2_S2_S2_EEvlNS_24const_host_device_scalarIT5_EEPKT1_S8_PKT2_PKT3_PT4_21rocsparse_index_base_b.numbered_sgpr, 26
	.set _ZN9rocsparseL19coomvn_atomic_loopsILj256ELj2El21rocsparse_complex_numIdES2_S2_S2_EEvlNS_24const_host_device_scalarIT5_EEPKT1_S8_PKT2_PKT3_PT4_21rocsparse_index_base_b.num_named_barrier, 0
	.set _ZN9rocsparseL19coomvn_atomic_loopsILj256ELj2El21rocsparse_complex_numIdES2_S2_S2_EEvlNS_24const_host_device_scalarIT5_EEPKT1_S8_PKT2_PKT3_PT4_21rocsparse_index_base_b.private_seg_size, 0
	.set _ZN9rocsparseL19coomvn_atomic_loopsILj256ELj2El21rocsparse_complex_numIdES2_S2_S2_EEvlNS_24const_host_device_scalarIT5_EEPKT1_S8_PKT2_PKT3_PT4_21rocsparse_index_base_b.uses_vcc, 1
	.set _ZN9rocsparseL19coomvn_atomic_loopsILj256ELj2El21rocsparse_complex_numIdES2_S2_S2_EEvlNS_24const_host_device_scalarIT5_EEPKT1_S8_PKT2_PKT3_PT4_21rocsparse_index_base_b.uses_flat_scratch, 0
	.set _ZN9rocsparseL19coomvn_atomic_loopsILj256ELj2El21rocsparse_complex_numIdES2_S2_S2_EEvlNS_24const_host_device_scalarIT5_EEPKT1_S8_PKT2_PKT3_PT4_21rocsparse_index_base_b.has_dyn_sized_stack, 0
	.set _ZN9rocsparseL19coomvn_atomic_loopsILj256ELj2El21rocsparse_complex_numIdES2_S2_S2_EEvlNS_24const_host_device_scalarIT5_EEPKT1_S8_PKT2_PKT3_PT4_21rocsparse_index_base_b.has_recursion, 0
	.set _ZN9rocsparseL19coomvn_atomic_loopsILj256ELj2El21rocsparse_complex_numIdES2_S2_S2_EEvlNS_24const_host_device_scalarIT5_EEPKT1_S8_PKT2_PKT3_PT4_21rocsparse_index_base_b.has_indirect_call, 0
	.section	.AMDGPU.csdata,"",@progbits
; Kernel info:
; codeLenInByte = 3100
; TotalNumSgprs: 28
; NumVgprs: 36
; ScratchSize: 0
; MemoryBound: 1
; FloatMode: 240
; IeeeMode: 1
; LDSByteSize: 6144 bytes/workgroup (compile time only)
; SGPRBlocks: 0
; VGPRBlocks: 2
; NumSGPRsForWavesPerEU: 28
; NumVGPRsForWavesPerEU: 36
; NamedBarCnt: 0
; Occupancy: 16
; WaveLimiterHint : 1
; COMPUTE_PGM_RSRC2:SCRATCH_EN: 0
; COMPUTE_PGM_RSRC2:USER_SGPR: 2
; COMPUTE_PGM_RSRC2:TRAP_HANDLER: 0
; COMPUTE_PGM_RSRC2:TGID_X_EN: 1
; COMPUTE_PGM_RSRC2:TGID_Y_EN: 0
; COMPUTE_PGM_RSRC2:TGID_Z_EN: 0
; COMPUTE_PGM_RSRC2:TIDIG_COMP_CNT: 0
	.section	.text._ZN9rocsparseL22coomvn_segmented_loopsILj256EiaaiiEEvlT0_NS_24const_host_device_scalarIT4_EEPKS1_S6_PKT1_PKT2_PT3_PS1_PS3_21rocsparse_index_base_b,"axG",@progbits,_ZN9rocsparseL22coomvn_segmented_loopsILj256EiaaiiEEvlT0_NS_24const_host_device_scalarIT4_EEPKS1_S6_PKT1_PKT2_PT3_PS1_PS3_21rocsparse_index_base_b,comdat
	.globl	_ZN9rocsparseL22coomvn_segmented_loopsILj256EiaaiiEEvlT0_NS_24const_host_device_scalarIT4_EEPKS1_S6_PKT1_PKT2_PT3_PS1_PS3_21rocsparse_index_base_b ; -- Begin function _ZN9rocsparseL22coomvn_segmented_loopsILj256EiaaiiEEvlT0_NS_24const_host_device_scalarIT4_EEPKS1_S6_PKT1_PKT2_PT3_PS1_PS3_21rocsparse_index_base_b
	.p2align	8
	.type	_ZN9rocsparseL22coomvn_segmented_loopsILj256EiaaiiEEvlT0_NS_24const_host_device_scalarIT4_EEPKS1_S6_PKT1_PKT2_PT3_PS1_PS3_21rocsparse_index_base_b,@function
_ZN9rocsparseL22coomvn_segmented_loopsILj256EiaaiiEEvlT0_NS_24const_host_device_scalarIT4_EEPKS1_S6_PKT1_PKT2_PT3_PS1_PS3_21rocsparse_index_base_b: ; @_ZN9rocsparseL22coomvn_segmented_loopsILj256EiaaiiEEvlT0_NS_24const_host_device_scalarIT4_EEPKS1_S6_PKT1_PKT2_PT3_PS1_PS3_21rocsparse_index_base_b
; %bb.0:
	s_clause 0x1
	s_load_b64 s[28:29], s[0:1], 0x50
	s_load_b64 s[2:3], s[0:1], 0x10
	s_mov_b32 s4, 0
	s_wait_kmcnt 0x0
	s_bitcmp0_b32 s29, 0
	s_cbranch_scc0 .LBB42_2
; %bb.1:
	s_load_b32 s27, s[2:3], 0x0
	s_and_not1_b32 vcc_lo, exec_lo, s4
	s_cbranch_vccz .LBB42_3
	s_branch .LBB42_4
.LBB42_2:
                                        ; implicit-def: $sgpr27
.LBB42_3:
	s_wait_kmcnt 0x0
	s_mov_b32 s27, s2
.LBB42_4:
	s_wait_kmcnt 0x0
	s_cmp_eq_u32 s27, 0
	s_cbranch_scc1 .LBB42_91
; %bb.5:
	s_clause 0x1
	s_load_b96 s[24:26], s[0:1], 0x0
	s_load_b256 s[16:23], s[0:1], 0x18
	s_bfe_u32 s2, ttmp6, 0x4000c
	s_and_b32 s3, ttmp6, 15
	s_add_co_i32 s2, s2, 1
	s_getreg_b32 s4, hwreg(HW_REG_IB_STS2, 6, 4)
	s_mul_i32 s2, ttmp9, s2
	v_dual_mov_b32 v3, 0 :: v_dual_mov_b32 v10, -1
	s_add_co_i32 s3, s3, s2
	s_cmp_eq_u32 s4, 0
	s_cselect_b32 s33, ttmp9, s3
	s_delay_alu instid0(VALU_DEP_1) | instskip(SKIP_2) | instid1(SALU_CYCLE_1)
	v_mov_b32_e32 v11, v3
	s_wait_kmcnt 0x0
	s_mul_i32 s2, s33, s26
	v_lshl_or_b32 v2, s2, 8, v0
	s_mov_b32 s2, exec_lo
	s_delay_alu instid0(VALU_DEP_1)
	v_cmpx_gt_i64_e64 s[24:25], v[2:3]
	s_cbranch_execz .LBB42_7
; %bb.6:
	v_lshlrev_b64_e32 v[4:5], 2, v[2:3]
	s_ashr_i32 s29, s28, 31
	v_add_nc_u64_e32 v[8:9], s[20:21], v[2:3]
	s_sub_nc_u64 s[4:5], 0, s[28:29]
	s_delay_alu instid0(VALU_DEP_2) | instskip(SKIP_4) | instid1(VALU_DEP_1)
	v_add_nc_u64_e32 v[6:7], s[18:19], v[4:5]
	v_add_nc_u64_e32 v[4:5], s[16:17], v[4:5]
	global_load_b32 v6, v[6:7], off th:TH_LOAD_NT
	s_wait_loadcnt 0x0
	v_ashrrev_i32_e32 v7, 31, v6
	v_add_nc_u64_e32 v[6:7], s[22:23], v[6:7]
	s_delay_alu instid0(VALU_DEP_1)
	v_add_nc_u64_e32 v[6:7], s[4:5], v[6:7]
	global_load_b32 v1, v[4:5], off th:TH_LOAD_NT
	global_load_i8 v11, v[8:9], off th:TH_LOAD_NT
	global_load_i8 v12, v[6:7], off
	s_wait_loadcnt 0x2
	v_subrev_nc_u32_e32 v10, s28, v1
	s_wait_loadcnt 0x0
	v_mul_i32_i24_e32 v11, v12, v11
.LBB42_7:
	s_or_b32 exec_lo, exec_lo, s2
	v_lshlrev_b32_e32 v1, 2, v0
	v_cmp_eq_u32_e64 s2, 0, v0
	v_cmp_ne_u32_e64 s3, 0, v0
	s_delay_alu instid0(VALU_DEP_3)
	v_or_b32_e32 v8, 0x400, v1
	v_add_nc_u32_e32 v9, -4, v1
	ds_store_2addr_stride64_b32 v1, v10, v11 offset1:4
	s_wait_dscnt 0x0
	s_barrier_signal -1
	s_barrier_wait -1
	s_and_saveexec_b32 s4, s3
	s_cbranch_execz .LBB42_11
; %bb.8:
	ds_load_b32 v4, v9
	s_mov_b32 s5, exec_lo
	s_wait_dscnt 0x0
	v_cmpx_eq_u32_e64 v10, v4
	s_cbranch_execz .LBB42_10
; %bb.9:
	v_add_nc_u32_e32 v4, -4, v8
	ds_load_b32 v4, v4
	s_wait_dscnt 0x0
	v_add_nc_u32_e32 v11, v4, v11
.LBB42_10:
	s_or_b32 exec_lo, exec_lo, s5
.LBB42_11:
	s_delay_alu instid0(SALU_CYCLE_1)
	s_or_b32 exec_lo, exec_lo, s4
	v_cmp_lt_u32_e64 s4, 1, v0
	v_add_nc_u32_e32 v12, -8, v1
	s_barrier_signal -1
	s_barrier_wait -1
	ds_store_b32 v8, v11
	s_wait_dscnt 0x0
	s_barrier_signal -1
	s_barrier_wait -1
	s_and_saveexec_b32 s5, s4
	s_cbranch_execz .LBB42_15
; %bb.12:
	ds_load_b32 v4, v12
	s_mov_b32 s6, exec_lo
	s_wait_dscnt 0x0
	v_cmpx_eq_u32_e64 v10, v4
	s_cbranch_execz .LBB42_14
; %bb.13:
	v_add_nc_u32_e32 v4, -8, v8
	ds_load_b32 v4, v4
	s_wait_dscnt 0x0
	v_add_nc_u32_e32 v11, v4, v11
.LBB42_14:
	s_or_b32 exec_lo, exec_lo, s6
.LBB42_15:
	s_delay_alu instid0(SALU_CYCLE_1)
	s_or_b32 exec_lo, exec_lo, s5
	v_cmp_lt_u32_e64 s5, 3, v0
	v_add_nc_u32_e32 v13, -16, v1
	s_barrier_signal -1
	s_barrier_wait -1
	ds_store_b32 v8, v11
	s_wait_dscnt 0x0
	s_barrier_signal -1
	s_barrier_wait -1
	s_and_saveexec_b32 s6, s5
	s_cbranch_execz .LBB42_19
; %bb.16:
	ds_load_b32 v4, v13
	s_mov_b32 s7, exec_lo
	s_wait_dscnt 0x0
	v_cmpx_eq_u32_e64 v10, v4
	s_cbranch_execz .LBB42_18
; %bb.17:
	v_add_nc_u32_e32 v4, -16, v8
	ds_load_b32 v4, v4
	s_wait_dscnt 0x0
	v_add_nc_u32_e32 v11, v4, v11
.LBB42_18:
	s_or_b32 exec_lo, exec_lo, s7
.LBB42_19:
	s_delay_alu instid0(SALU_CYCLE_1)
	s_or_b32 exec_lo, exec_lo, s6
	v_cmp_lt_u32_e64 s6, 7, v0
	v_subrev_nc_u32_e32 v14, 32, v1
	s_barrier_signal -1
	s_barrier_wait -1
	ds_store_b32 v8, v11
	s_wait_dscnt 0x0
	s_barrier_signal -1
	s_barrier_wait -1
	s_and_saveexec_b32 s7, s6
	s_cbranch_execz .LBB42_23
; %bb.20:
	ds_load_b32 v4, v14
	s_mov_b32 s8, exec_lo
	s_wait_dscnt 0x0
	v_cmpx_eq_u32_e64 v10, v4
	s_cbranch_execz .LBB42_22
; %bb.21:
	v_subrev_nc_u32_e32 v4, 32, v8
	ds_load_b32 v4, v4
	s_wait_dscnt 0x0
	v_add_nc_u32_e32 v11, v4, v11
.LBB42_22:
	s_or_b32 exec_lo, exec_lo, s8
.LBB42_23:
	s_delay_alu instid0(SALU_CYCLE_1)
	s_or_b32 exec_lo, exec_lo, s7
	v_cmp_lt_u32_e64 s7, 15, v0
	v_subrev_nc_u32_e32 v15, 64, v1
	s_barrier_signal -1
	s_barrier_wait -1
	ds_store_b32 v8, v11
	s_wait_dscnt 0x0
	s_barrier_signal -1
	s_barrier_wait -1
	s_and_saveexec_b32 s8, s7
	s_cbranch_execz .LBB42_27
; %bb.24:
	ds_load_b32 v4, v15
	s_mov_b32 s9, exec_lo
	s_wait_dscnt 0x0
	v_cmpx_eq_u32_e64 v10, v4
	s_cbranch_execz .LBB42_26
; %bb.25:
	v_subrev_nc_u32_e32 v4, 64, v8
	ds_load_b32 v4, v4
	s_wait_dscnt 0x0
	v_add_nc_u32_e32 v11, v4, v11
.LBB42_26:
	s_or_b32 exec_lo, exec_lo, s9
.LBB42_27:
	s_delay_alu instid0(SALU_CYCLE_1)
	s_or_b32 exec_lo, exec_lo, s8
	v_cmp_lt_u32_e64 s8, 31, v0
	v_add_nc_u32_e32 v16, 0xffffff80, v1
	s_barrier_signal -1
	s_barrier_wait -1
	ds_store_b32 v8, v11
	s_wait_dscnt 0x0
	s_barrier_signal -1
	s_barrier_wait -1
	s_and_saveexec_b32 s9, s8
	s_cbranch_execz .LBB42_31
; %bb.28:
	ds_load_b32 v4, v16
	s_mov_b32 s10, exec_lo
	s_wait_dscnt 0x0
	v_cmpx_eq_u32_e64 v10, v4
	s_cbranch_execz .LBB42_30
; %bb.29:
	v_add_nc_u32_e32 v4, 0xffffff80, v8
	ds_load_b32 v4, v4
	s_wait_dscnt 0x0
	v_add_nc_u32_e32 v11, v4, v11
.LBB42_30:
	s_or_b32 exec_lo, exec_lo, s10
.LBB42_31:
	s_delay_alu instid0(SALU_CYCLE_1)
	s_or_b32 exec_lo, exec_lo, s9
	v_cmp_lt_u32_e64 s9, 63, v0
	v_add_nc_u32_e32 v17, 0xffffff00, v1
	s_barrier_signal -1
	s_barrier_wait -1
	ds_store_b32 v8, v11
	s_wait_dscnt 0x0
	s_barrier_signal -1
	s_barrier_wait -1
	s_and_saveexec_b32 s10, s9
	s_cbranch_execz .LBB42_35
; %bb.32:
	ds_load_b32 v4, v17
	s_mov_b32 s11, exec_lo
	s_wait_dscnt 0x0
	v_cmpx_eq_u32_e64 v10, v4
	s_cbranch_execz .LBB42_34
; %bb.33:
	v_add_nc_u32_e32 v4, 0xffffff00, v8
	ds_load_b32 v4, v4
	s_wait_dscnt 0x0
	v_add_nc_u32_e32 v11, v4, v11
.LBB42_34:
	s_or_b32 exec_lo, exec_lo, s11
.LBB42_35:
	s_delay_alu instid0(SALU_CYCLE_1)
	s_or_b32 exec_lo, exec_lo, s10
	s_load_b64 s[30:31], s[0:1], 0x38
	v_cmp_lt_u32_e64 s10, 0x7f, v0
	v_add_nc_u32_e32 v18, 0xfffffe00, v1
	s_barrier_signal -1
	s_barrier_wait -1
	ds_store_b32 v8, v11
	s_wait_dscnt 0x0
	s_barrier_signal -1
	s_barrier_wait -1
	s_and_saveexec_b32 s11, s10
	s_cbranch_execz .LBB42_39
; %bb.36:
	ds_load_b32 v4, v18
	s_mov_b32 s12, exec_lo
	s_wait_dscnt 0x0
	v_cmpx_eq_u32_e64 v10, v4
	s_cbranch_execz .LBB42_38
; %bb.37:
	v_add_nc_u32_e32 v4, 0xfffffe00, v8
	ds_load_b32 v4, v4
	s_wait_dscnt 0x0
	v_add_nc_u32_e32 v11, v4, v11
.LBB42_38:
	s_or_b32 exec_lo, exec_lo, s12
.LBB42_39:
	s_delay_alu instid0(SALU_CYCLE_1)
	s_or_b32 exec_lo, exec_lo, s11
	v_cmp_gt_u32_e64 s11, 0xff, v0
	s_barrier_signal -1
	s_barrier_wait -1
	ds_store_b32 v8, v11
	s_wait_dscnt 0x0
	s_barrier_signal -1
	s_barrier_wait -1
	s_and_saveexec_b32 s13, s11
	s_cbranch_execz .LBB42_42
; %bb.40:
	ds_load_b32 v4, v1 offset:4
	v_cmp_lt_i32_e64 s12, -1, v10
	s_wait_dscnt 0x0
	v_cmp_ne_u32_e32 vcc_lo, v10, v4
	s_and_b32 s12, s12, vcc_lo
	s_delay_alu instid0(SALU_CYCLE_1)
	s_and_b32 exec_lo, exec_lo, s12
	s_cbranch_execz .LBB42_42
; %bb.41:
	s_wait_kmcnt 0x0
	global_load_b32 v4, v10, s[30:31] scale_offset
	s_wait_loadcnt 0x0
	v_mad_u32 v4, v11, s27, v4
	global_store_b32 v10, v4, s[30:31] scale_offset
.LBB42_42:
	s_wait_xcnt 0x0
	s_or_b32 exec_lo, exec_lo, s13
	s_load_b128 s[12:15], s[0:1], 0x40
	s_cmp_lt_i32 s26, 2
	s_cbranch_scc1 .LBB42_89
; %bb.43:
	v_lshl_add_u64 v[6:7], v[2:3], 2, 0x400
	v_add_nc_u64_e32 v[2:3], 0x100, v[2:3]
	s_ashr_i32 s29, s28, 31
	v_dual_add_nc_u32 v19, -4, v8 :: v_dual_add_nc_u32 v20, -8, v8
	s_delay_alu instid0(VALU_DEP_3)
	v_add_nc_u64_e32 v[4:5], s[18:19], v[6:7]
	v_add_nc_u64_e32 v[6:7], s[16:17], v[6:7]
	v_dual_add_nc_u32 v21, -16, v8 :: v_dual_mov_b32 v27, 0
	v_subrev_nc_u32_e32 v22, 32, v8
	v_subrev_nc_u32_e32 v23, 64, v8
	v_add_nc_u32_e32 v24, 0xffffff80, v8
	v_add_nc_u32_e32 v25, 0xffffff00, v8
	;; [unrolled: 1-line block ×3, first 2 shown]
	s_wait_xcnt 0x0
	s_sub_nc_u64 s[0:1], 0, s[28:29]
	s_delay_alu instid0(SALU_CYCLE_1)
	s_add_nc_u64 s[16:17], s[22:23], s[0:1]
	s_add_co_i32 s1, s26, -1
	s_branch .LBB42_45
.LBB42_44:                              ;   in Loop: Header=BB42_45 Depth=1
	s_wait_xcnt 0x0
	s_or_b32 exec_lo, exec_lo, s18
	v_add_nc_u64_e32 v[4:5], 0x400, v[4:5]
	v_add_nc_u64_e32 v[2:3], 0x100, v[2:3]
	;; [unrolled: 1-line block ×3, first 2 shown]
	s_add_co_i32 s1, s1, -1
	s_delay_alu instid0(SALU_CYCLE_1)
	s_cmp_eq_u32 s1, 0
	s_cbranch_scc1 .LBB42_89
.LBB42_45:                              ; =>This Inner Loop Header: Depth=1
	v_dual_mov_b32 v10, -1 :: v_dual_mov_b32 v11, 0
	s_mov_b32 s0, exec_lo
	v_cmpx_gt_i64_e64 s[24:25], v[2:3]
	s_cbranch_execz .LBB42_47
; %bb.46:                               ;   in Loop: Header=BB42_45 Depth=1
	global_load_b32 v28, v[4:5], off th:TH_LOAD_NT
	v_add_nc_u64_e32 v[10:11], s[20:21], v[2:3]
	global_load_b32 v29, v[6:7], off th:TH_LOAD_NT
	global_load_i8 v30, v[10:11], off th:TH_LOAD_NT
	s_wait_loadcnt 0x2
	global_load_i8 v31, v28, s[16:17]
	s_wait_loadcnt 0x2
	s_wait_xcnt 0x1
	v_subrev_nc_u32_e32 v10, s28, v29
	s_wait_loadcnt 0x0
	v_mul_i32_i24_e32 v11, v31, v30
.LBB42_47:                              ;   in Loop: Header=BB42_45 Depth=1
	s_wait_xcnt 0x0
	s_or_b32 exec_lo, exec_lo, s0
	s_and_saveexec_b32 s0, s2
	s_cbranch_execz .LBB42_54
; %bb.48:                               ;   in Loop: Header=BB42_45 Depth=1
	ds_load_b32 v28, v27 offset:1020
	s_mov_b32 s18, exec_lo
	s_wait_dscnt 0x0
	v_cmpx_ne_u32_e64 v10, v28
	s_xor_b32 s18, exec_lo, s18
	s_cbranch_execz .LBB42_51
; %bb.49:                               ;   in Loop: Header=BB42_45 Depth=1
	v_cmp_gt_i32_e32 vcc_lo, 0, v28
	s_cbranch_vccnz .LBB42_51
; %bb.50:                               ;   in Loop: Header=BB42_45 Depth=1
	s_wait_kmcnt 0x0
	global_load_b32 v29, v28, s[30:31] scale_offset
	ds_load_b32 v30, v27 offset:2044
	s_wait_dscnt 0x0
	v_mul_lo_u32 v30, v30, s27
	s_wait_loadcnt 0x0
	s_delay_alu instid0(VALU_DEP_1)
	v_add_nc_u32_e32 v29, v30, v29
	global_store_b32 v28, v29, s[30:31] scale_offset
.LBB42_51:                              ;   in Loop: Header=BB42_45 Depth=1
	s_wait_xcnt 0x0
	s_and_not1_saveexec_b32 s18, s18
	s_cbranch_execz .LBB42_53
; %bb.52:                               ;   in Loop: Header=BB42_45 Depth=1
	ds_load_b32 v28, v27 offset:2044
	s_wait_dscnt 0x0
	v_add_nc_u32_e32 v11, v28, v11
.LBB42_53:                              ;   in Loop: Header=BB42_45 Depth=1
	s_or_b32 exec_lo, exec_lo, s18
.LBB42_54:                              ;   in Loop: Header=BB42_45 Depth=1
	s_delay_alu instid0(SALU_CYCLE_1)
	s_or_b32 exec_lo, exec_lo, s0
	s_wait_storecnt 0x0
	s_barrier_signal -1
	s_barrier_wait -1
	ds_store_b32 v1, v10
	ds_store_b32 v8, v11
	s_wait_dscnt 0x0
	s_barrier_signal -1
	s_barrier_wait -1
	s_and_saveexec_b32 s0, s3
	s_cbranch_execz .LBB42_58
; %bb.55:                               ;   in Loop: Header=BB42_45 Depth=1
	ds_load_b32 v28, v9
	s_mov_b32 s18, exec_lo
	s_wait_dscnt 0x0
	v_cmpx_eq_u32_e64 v10, v28
	s_cbranch_execz .LBB42_57
; %bb.56:                               ;   in Loop: Header=BB42_45 Depth=1
	ds_load_b32 v28, v19
	s_wait_dscnt 0x0
	v_add_nc_u32_e32 v11, v28, v11
.LBB42_57:                              ;   in Loop: Header=BB42_45 Depth=1
	s_or_b32 exec_lo, exec_lo, s18
.LBB42_58:                              ;   in Loop: Header=BB42_45 Depth=1
	s_delay_alu instid0(SALU_CYCLE_1)
	s_or_b32 exec_lo, exec_lo, s0
	s_barrier_signal -1
	s_barrier_wait -1
	ds_store_b32 v8, v11
	s_wait_dscnt 0x0
	s_barrier_signal -1
	s_barrier_wait -1
	s_and_saveexec_b32 s0, s4
	s_cbranch_execz .LBB42_62
; %bb.59:                               ;   in Loop: Header=BB42_45 Depth=1
	ds_load_b32 v28, v12
	s_mov_b32 s18, exec_lo
	s_wait_dscnt 0x0
	v_cmpx_eq_u32_e64 v10, v28
	s_cbranch_execz .LBB42_61
; %bb.60:                               ;   in Loop: Header=BB42_45 Depth=1
	ds_load_b32 v28, v20
	s_wait_dscnt 0x0
	v_add_nc_u32_e32 v11, v28, v11
.LBB42_61:                              ;   in Loop: Header=BB42_45 Depth=1
	s_or_b32 exec_lo, exec_lo, s18
.LBB42_62:                              ;   in Loop: Header=BB42_45 Depth=1
	s_delay_alu instid0(SALU_CYCLE_1)
	s_or_b32 exec_lo, exec_lo, s0
	s_barrier_signal -1
	s_barrier_wait -1
	;; [unrolled: 23-line block ×8, first 2 shown]
	ds_store_b32 v8, v11
	s_wait_dscnt 0x0
	s_barrier_signal -1
	s_barrier_wait -1
	s_and_saveexec_b32 s18, s11
	s_cbranch_execz .LBB42_44
; %bb.87:                               ;   in Loop: Header=BB42_45 Depth=1
	ds_load_b32 v28, v1 offset:4
	v_cmp_lt_i32_e64 s0, -1, v10
	s_wait_dscnt 0x0
	v_cmp_ne_u32_e32 vcc_lo, v10, v28
	s_and_b32 s0, s0, vcc_lo
	s_delay_alu instid0(SALU_CYCLE_1)
	s_and_b32 exec_lo, exec_lo, s0
	s_cbranch_execz .LBB42_44
; %bb.88:                               ;   in Loop: Header=BB42_45 Depth=1
	s_wait_kmcnt 0x0
	global_load_b32 v28, v10, s[30:31] scale_offset
	s_wait_loadcnt 0x0
	v_mad_u32 v28, v11, s27, v28
	global_store_b32 v10, v28, s[30:31] scale_offset
	s_branch .LBB42_44
.LBB42_89:
	s_wait_xcnt 0x0
	s_mov_b32 s0, exec_lo
	v_cmpx_eq_u32_e32 0xff, v0
	s_cbranch_execz .LBB42_91
; %bb.90:
	v_mul_lo_u32 v0, v11, s27
	v_mov_b32_e32 v1, s33
	s_wait_kmcnt 0x0
	s_clause 0x1
	global_store_b32 v1, v10, s[12:13] scale_offset th:TH_STORE_NT
	global_store_b32 v1, v0, s[14:15] scale_offset th:TH_STORE_NT
.LBB42_91:
	s_endpgm
	.section	.rodata,"a",@progbits
	.p2align	6, 0x0
	.amdhsa_kernel _ZN9rocsparseL22coomvn_segmented_loopsILj256EiaaiiEEvlT0_NS_24const_host_device_scalarIT4_EEPKS1_S6_PKT1_PKT2_PT3_PS1_PS3_21rocsparse_index_base_b
		.amdhsa_group_segment_fixed_size 2048
		.amdhsa_private_segment_fixed_size 0
		.amdhsa_kernarg_size 88
		.amdhsa_user_sgpr_count 2
		.amdhsa_user_sgpr_dispatch_ptr 0
		.amdhsa_user_sgpr_queue_ptr 0
		.amdhsa_user_sgpr_kernarg_segment_ptr 1
		.amdhsa_user_sgpr_dispatch_id 0
		.amdhsa_user_sgpr_kernarg_preload_length 0
		.amdhsa_user_sgpr_kernarg_preload_offset 0
		.amdhsa_user_sgpr_private_segment_size 0
		.amdhsa_wavefront_size32 1
		.amdhsa_uses_dynamic_stack 0
		.amdhsa_enable_private_segment 0
		.amdhsa_system_sgpr_workgroup_id_x 1
		.amdhsa_system_sgpr_workgroup_id_y 0
		.amdhsa_system_sgpr_workgroup_id_z 0
		.amdhsa_system_sgpr_workgroup_info 0
		.amdhsa_system_vgpr_workitem_id 0
		.amdhsa_next_free_vgpr 32
		.amdhsa_next_free_sgpr 34
		.amdhsa_named_barrier_count 0
		.amdhsa_reserve_vcc 1
		.amdhsa_float_round_mode_32 0
		.amdhsa_float_round_mode_16_64 0
		.amdhsa_float_denorm_mode_32 3
		.amdhsa_float_denorm_mode_16_64 3
		.amdhsa_fp16_overflow 0
		.amdhsa_memory_ordered 1
		.amdhsa_forward_progress 1
		.amdhsa_inst_pref_size 22
		.amdhsa_round_robin_scheduling 0
		.amdhsa_exception_fp_ieee_invalid_op 0
		.amdhsa_exception_fp_denorm_src 0
		.amdhsa_exception_fp_ieee_div_zero 0
		.amdhsa_exception_fp_ieee_overflow 0
		.amdhsa_exception_fp_ieee_underflow 0
		.amdhsa_exception_fp_ieee_inexact 0
		.amdhsa_exception_int_div_zero 0
	.end_amdhsa_kernel
	.section	.text._ZN9rocsparseL22coomvn_segmented_loopsILj256EiaaiiEEvlT0_NS_24const_host_device_scalarIT4_EEPKS1_S6_PKT1_PKT2_PT3_PS1_PS3_21rocsparse_index_base_b,"axG",@progbits,_ZN9rocsparseL22coomvn_segmented_loopsILj256EiaaiiEEvlT0_NS_24const_host_device_scalarIT4_EEPKS1_S6_PKT1_PKT2_PT3_PS1_PS3_21rocsparse_index_base_b,comdat
.Lfunc_end42:
	.size	_ZN9rocsparseL22coomvn_segmented_loopsILj256EiaaiiEEvlT0_NS_24const_host_device_scalarIT4_EEPKS1_S6_PKT1_PKT2_PT3_PS1_PS3_21rocsparse_index_base_b, .Lfunc_end42-_ZN9rocsparseL22coomvn_segmented_loopsILj256EiaaiiEEvlT0_NS_24const_host_device_scalarIT4_EEPKS1_S6_PKT1_PKT2_PT3_PS1_PS3_21rocsparse_index_base_b
                                        ; -- End function
	.set _ZN9rocsparseL22coomvn_segmented_loopsILj256EiaaiiEEvlT0_NS_24const_host_device_scalarIT4_EEPKS1_S6_PKT1_PKT2_PT3_PS1_PS3_21rocsparse_index_base_b.num_vgpr, 32
	.set _ZN9rocsparseL22coomvn_segmented_loopsILj256EiaaiiEEvlT0_NS_24const_host_device_scalarIT4_EEPKS1_S6_PKT1_PKT2_PT3_PS1_PS3_21rocsparse_index_base_b.num_agpr, 0
	.set _ZN9rocsparseL22coomvn_segmented_loopsILj256EiaaiiEEvlT0_NS_24const_host_device_scalarIT4_EEPKS1_S6_PKT1_PKT2_PT3_PS1_PS3_21rocsparse_index_base_b.numbered_sgpr, 34
	.set _ZN9rocsparseL22coomvn_segmented_loopsILj256EiaaiiEEvlT0_NS_24const_host_device_scalarIT4_EEPKS1_S6_PKT1_PKT2_PT3_PS1_PS3_21rocsparse_index_base_b.num_named_barrier, 0
	.set _ZN9rocsparseL22coomvn_segmented_loopsILj256EiaaiiEEvlT0_NS_24const_host_device_scalarIT4_EEPKS1_S6_PKT1_PKT2_PT3_PS1_PS3_21rocsparse_index_base_b.private_seg_size, 0
	.set _ZN9rocsparseL22coomvn_segmented_loopsILj256EiaaiiEEvlT0_NS_24const_host_device_scalarIT4_EEPKS1_S6_PKT1_PKT2_PT3_PS1_PS3_21rocsparse_index_base_b.uses_vcc, 1
	.set _ZN9rocsparseL22coomvn_segmented_loopsILj256EiaaiiEEvlT0_NS_24const_host_device_scalarIT4_EEPKS1_S6_PKT1_PKT2_PT3_PS1_PS3_21rocsparse_index_base_b.uses_flat_scratch, 0
	.set _ZN9rocsparseL22coomvn_segmented_loopsILj256EiaaiiEEvlT0_NS_24const_host_device_scalarIT4_EEPKS1_S6_PKT1_PKT2_PT3_PS1_PS3_21rocsparse_index_base_b.has_dyn_sized_stack, 0
	.set _ZN9rocsparseL22coomvn_segmented_loopsILj256EiaaiiEEvlT0_NS_24const_host_device_scalarIT4_EEPKS1_S6_PKT1_PKT2_PT3_PS1_PS3_21rocsparse_index_base_b.has_recursion, 0
	.set _ZN9rocsparseL22coomvn_segmented_loopsILj256EiaaiiEEvlT0_NS_24const_host_device_scalarIT4_EEPKS1_S6_PKT1_PKT2_PT3_PS1_PS3_21rocsparse_index_base_b.has_indirect_call, 0
	.section	.AMDGPU.csdata,"",@progbits
; Kernel info:
; codeLenInByte = 2724
; TotalNumSgprs: 36
; NumVgprs: 32
; ScratchSize: 0
; MemoryBound: 0
; FloatMode: 240
; IeeeMode: 1
; LDSByteSize: 2048 bytes/workgroup (compile time only)
; SGPRBlocks: 0
; VGPRBlocks: 1
; NumSGPRsForWavesPerEU: 36
; NumVGPRsForWavesPerEU: 32
; NamedBarCnt: 0
; Occupancy: 16
; WaveLimiterHint : 1
; COMPUTE_PGM_RSRC2:SCRATCH_EN: 0
; COMPUTE_PGM_RSRC2:USER_SGPR: 2
; COMPUTE_PGM_RSRC2:TRAP_HANDLER: 0
; COMPUTE_PGM_RSRC2:TGID_X_EN: 1
; COMPUTE_PGM_RSRC2:TGID_Y_EN: 0
; COMPUTE_PGM_RSRC2:TGID_Z_EN: 0
; COMPUTE_PGM_RSRC2:TIDIG_COMP_CNT: 0
	.section	.text._ZN9rocsparseL29coomvn_segmented_loops_reduceILj256EiiiEEvT0_NS_24const_host_device_scalarIT2_EEPKS1_PKS3_PT1_b,"axG",@progbits,_ZN9rocsparseL29coomvn_segmented_loops_reduceILj256EiiiEEvT0_NS_24const_host_device_scalarIT2_EEPKS1_PKS3_PT1_b,comdat
	.globl	_ZN9rocsparseL29coomvn_segmented_loops_reduceILj256EiiiEEvT0_NS_24const_host_device_scalarIT2_EEPKS1_PKS3_PT1_b ; -- Begin function _ZN9rocsparseL29coomvn_segmented_loops_reduceILj256EiiiEEvT0_NS_24const_host_device_scalarIT2_EEPKS1_PKS3_PT1_b
	.p2align	8
	.type	_ZN9rocsparseL29coomvn_segmented_loops_reduceILj256EiiiEEvT0_NS_24const_host_device_scalarIT2_EEPKS1_PKS3_PT1_b,@function
_ZN9rocsparseL29coomvn_segmented_loops_reduceILj256EiiiEEvT0_NS_24const_host_device_scalarIT2_EEPKS1_PKS3_PT1_b: ; @_ZN9rocsparseL29coomvn_segmented_loops_reduceILj256EiiiEEvT0_NS_24const_host_device_scalarIT2_EEPKS1_PKS3_PT1_b
; %bb.0:
	s_clause 0x1
	s_load_b32 s4, s[0:1], 0x28
	s_load_b64 s[2:3], s[0:1], 0x8
	s_wait_kmcnt 0x0
	s_bitcmp0_b32 s4, 0
	s_mov_b32 s4, 0
	s_cbranch_scc0 .LBB43_2
; %bb.1:
	s_load_b32 s3, s[2:3], 0x0
	s_and_not1_b32 vcc_lo, exec_lo, s4
	s_cbranch_vccz .LBB43_3
	s_branch .LBB43_4
.LBB43_2:
                                        ; implicit-def: $sgpr3
.LBB43_3:
	s_wait_kmcnt 0x0
	s_mov_b32 s3, s2
.LBB43_4:
	s_wait_kmcnt 0x0
	s_cmp_eq_u32 s3, 0
	s_cbranch_scc1 .LBB43_46
; %bb.5:
	s_load_b32 s8, s[0:1], 0x0
	s_wait_kmcnt 0x0
	s_cmp_lt_i32 s8, 1
	s_cbranch_scc1 .LBB43_46
; %bb.6:
	s_clause 0x1
	s_load_b128 s[4:7], s[0:1], 0x10
	s_load_b64 s[2:3], s[0:1], 0x20
	s_wait_xcnt 0x0
	v_sub_co_u32 v4, s0, v0, 1
	s_xor_b32 s9, s0, -1
	v_sub_co_u32 v6, s0, v0, 2
	s_xor_b32 s10, s0, -1
	;; [unrolled: 2-line block ×5, first 2 shown]
	v_sub_co_u32 v14, s0, v0, 32
	v_lshlrev_b32_e32 v1, 2, v0
	s_xor_b32 s14, s0, -1
	v_sub_co_u32 v16, s0, v0, 64
	v_subrev_co_u32 v18, s1, 0x80, v0
	s_delay_alu instid0(VALU_DEP_3)
	v_or_b32_e32 v2, 0x400, v1
	v_dual_add_nc_u32 v3, -4, v1 :: v_dual_add_nc_u32 v5, -8, v1
	v_lshl_add_u32 v4, v4, 2, 0x400
	v_lshl_add_u32 v6, v6, 2, 0x400
	v_add_nc_u32_e32 v7, -16, v1
	v_lshl_add_u32 v8, v8, 2, 0x400
	v_subrev_nc_u32_e32 v9, 32, v1
	v_lshl_add_u32 v10, v10, 2, 0x400
	v_subrev_nc_u32_e32 v11, 64, v1
	v_lshl_add_u32 v12, v12, 2, 0x400
	v_add_nc_u32_e32 v13, 0xffffff80, v1
	v_lshl_add_u32 v14, v14, 2, 0x400
	v_add_nc_u32_e32 v15, 0xffffff00, v1
	;; [unrolled: 2-line block ×3, first 2 shown]
	v_lshl_add_u32 v18, v18, 2, 0x400
	s_xor_b32 s15, s0, -1
	s_xor_b32 s16, s1, -1
	s_mov_b32 s17, 0
	v_cmp_gt_u32_e32 vcc_lo, 0xff, v0
	s_branch .LBB43_8
.LBB43_7:                               ;   in Loop: Header=BB43_8 Depth=1
	s_wait_xcnt 0x0
	s_or_b32 exec_lo, exec_lo, s0
	s_addk_co_i32 s17, 0x100
	s_wait_storecnt 0x0
	s_cmp_lt_i32 s17, s8
	s_barrier_signal -1
	s_barrier_wait -1
	s_cbranch_scc0 .LBB43_46
.LBB43_8:                               ; =>This Inner Loop Header: Depth=1
	v_dual_add_nc_u32 v21, s17, v0 :: v_dual_mov_b32 v19, 0
	v_dual_mov_b32 v20, -1 :: v_dual_mov_b32 v22, 0
	s_mov_b32 s1, exec_lo
	s_delay_alu instid0(VALU_DEP_2)
	v_cmpx_gt_i32_e64 s8, v21
	s_cbranch_execz .LBB43_10
; %bb.9:                                ;   in Loop: Header=BB43_8 Depth=1
	s_wait_kmcnt 0x0
	s_clause 0x1
	global_load_b32 v20, v21, s[4:5] scale_offset
	global_load_b32 v22, v21, s[6:7] scale_offset
.LBB43_10:                              ;   in Loop: Header=BB43_8 Depth=1
	s_wait_xcnt 0x0
	s_or_b32 exec_lo, exec_lo, s1
	s_wait_loadcnt 0x1
	ds_store_b32 v1, v20
	s_wait_loadcnt 0x0
	ds_store_b32 v2, v22
	s_wait_dscnt 0x0
	s_barrier_signal -1
	s_barrier_wait -1
	s_and_saveexec_b32 s1, s9
	s_cbranch_execz .LBB43_14
; %bb.11:                               ;   in Loop: Header=BB43_8 Depth=1
	ds_load_2addr_b32 v[20:21], v3 offset1:1
	v_mov_b32_e32 v19, 0
	s_mov_b32 s18, exec_lo
	s_wait_dscnt 0x0
	v_cmpx_eq_u32_e64 v21, v20
; %bb.12:                               ;   in Loop: Header=BB43_8 Depth=1
	ds_load_b32 v19, v4
; %bb.13:                               ;   in Loop: Header=BB43_8 Depth=1
	s_or_b32 exec_lo, exec_lo, s18
.LBB43_14:                              ;   in Loop: Header=BB43_8 Depth=1
	s_delay_alu instid0(SALU_CYCLE_1)
	s_or_b32 exec_lo, exec_lo, s1
	s_wait_dscnt 0x0
	s_barrier_signal -1
	s_barrier_wait -1
	ds_load_b32 v20, v2
	s_wait_dscnt 0x0
	v_dual_add_nc_u32 v21, v20, v19 :: v_dual_mov_b32 v19, 0
	v_mov_b32_e32 v20, 0
	ds_store_b32 v2, v21
	s_wait_dscnt 0x0
	s_barrier_signal -1
	s_barrier_wait -1
	s_and_saveexec_b32 s1, s10
	s_cbranch_execz .LBB43_18
; %bb.15:                               ;   in Loop: Header=BB43_8 Depth=1
	ds_load_b32 v20, v1
	ds_load_b32 v21, v5
	s_wait_dscnt 0x0
	v_cmp_eq_u32_e64 s0, v20, v21
	v_mov_b32_e32 v20, 0
	s_and_saveexec_b32 s18, s0
; %bb.16:                               ;   in Loop: Header=BB43_8 Depth=1
	ds_load_b32 v20, v6
; %bb.17:                               ;   in Loop: Header=BB43_8 Depth=1
	s_or_b32 exec_lo, exec_lo, s18
.LBB43_18:                              ;   in Loop: Header=BB43_8 Depth=1
	s_delay_alu instid0(SALU_CYCLE_1)
	s_or_b32 exec_lo, exec_lo, s1
	s_wait_dscnt 0x0
	s_barrier_signal -1
	s_barrier_wait -1
	ds_load_b32 v21, v2
	s_wait_dscnt 0x0
	v_add_nc_u32_e32 v20, v21, v20
	ds_store_b32 v2, v20
	s_wait_dscnt 0x0
	s_barrier_signal -1
	s_barrier_wait -1
	s_and_saveexec_b32 s1, s11
	s_cbranch_execz .LBB43_22
; %bb.19:                               ;   in Loop: Header=BB43_8 Depth=1
	ds_load_b32 v19, v1
	ds_load_b32 v20, v7
	s_wait_dscnt 0x0
	v_cmp_eq_u32_e64 s0, v19, v20
	v_mov_b32_e32 v19, 0
	s_and_saveexec_b32 s18, s0
; %bb.20:                               ;   in Loop: Header=BB43_8 Depth=1
	ds_load_b32 v19, v8
; %bb.21:                               ;   in Loop: Header=BB43_8 Depth=1
	s_or_b32 exec_lo, exec_lo, s18
.LBB43_22:                              ;   in Loop: Header=BB43_8 Depth=1
	s_delay_alu instid0(SALU_CYCLE_1)
	s_or_b32 exec_lo, exec_lo, s1
	s_wait_dscnt 0x0
	s_barrier_signal -1
	s_barrier_wait -1
	ds_load_b32 v20, v2
	s_wait_dscnt 0x0
	v_dual_add_nc_u32 v21, v20, v19 :: v_dual_mov_b32 v19, 0
	v_mov_b32_e32 v20, 0
	ds_store_b32 v2, v21
	s_wait_dscnt 0x0
	s_barrier_signal -1
	s_barrier_wait -1
	s_and_saveexec_b32 s1, s12
	s_cbranch_execz .LBB43_26
; %bb.23:                               ;   in Loop: Header=BB43_8 Depth=1
	ds_load_b32 v20, v1
	ds_load_b32 v21, v9
	s_wait_dscnt 0x0
	v_cmp_eq_u32_e64 s0, v20, v21
	v_mov_b32_e32 v20, 0
	s_and_saveexec_b32 s18, s0
; %bb.24:                               ;   in Loop: Header=BB43_8 Depth=1
	ds_load_b32 v20, v10
; %bb.25:                               ;   in Loop: Header=BB43_8 Depth=1
	s_or_b32 exec_lo, exec_lo, s18
.LBB43_26:                              ;   in Loop: Header=BB43_8 Depth=1
	s_delay_alu instid0(SALU_CYCLE_1)
	s_or_b32 exec_lo, exec_lo, s1
	s_wait_dscnt 0x0
	s_barrier_signal -1
	s_barrier_wait -1
	ds_load_b32 v21, v2
	s_wait_dscnt 0x0
	v_add_nc_u32_e32 v20, v21, v20
	ds_store_b32 v2, v20
	s_wait_dscnt 0x0
	s_barrier_signal -1
	s_barrier_wait -1
	s_and_saveexec_b32 s1, s13
	s_cbranch_execz .LBB43_30
; %bb.27:                               ;   in Loop: Header=BB43_8 Depth=1
	ds_load_b32 v19, v1
	ds_load_b32 v20, v11
	s_wait_dscnt 0x0
	v_cmp_eq_u32_e64 s0, v19, v20
	v_mov_b32_e32 v19, 0
	s_and_saveexec_b32 s18, s0
; %bb.28:                               ;   in Loop: Header=BB43_8 Depth=1
	ds_load_b32 v19, v12
; %bb.29:                               ;   in Loop: Header=BB43_8 Depth=1
	s_or_b32 exec_lo, exec_lo, s18
.LBB43_30:                              ;   in Loop: Header=BB43_8 Depth=1
	;; [unrolled: 53-line block ×3, first 2 shown]
	s_delay_alu instid0(SALU_CYCLE_1)
	s_or_b32 exec_lo, exec_lo, s1
	s_wait_dscnt 0x0
	s_barrier_signal -1
	s_barrier_wait -1
	ds_load_b32 v20, v2
	s_wait_dscnt 0x0
	v_dual_mov_b32 v19, 0 :: v_dual_add_nc_u32 v20, v20, v19
	ds_store_b32 v2, v20
	s_wait_dscnt 0x0
	s_barrier_signal -1
	s_barrier_wait -1
	s_and_saveexec_b32 s1, s16
	s_cbranch_execz .LBB43_42
; %bb.39:                               ;   in Loop: Header=BB43_8 Depth=1
	ds_load_b32 v19, v1
	ds_load_b32 v20, v17
	s_wait_dscnt 0x0
	v_cmp_eq_u32_e64 s0, v19, v20
	v_mov_b32_e32 v19, 0
	s_and_saveexec_b32 s18, s0
; %bb.40:                               ;   in Loop: Header=BB43_8 Depth=1
	ds_load_b32 v19, v18
; %bb.41:                               ;   in Loop: Header=BB43_8 Depth=1
	s_or_b32 exec_lo, exec_lo, s18
.LBB43_42:                              ;   in Loop: Header=BB43_8 Depth=1
	s_delay_alu instid0(SALU_CYCLE_1)
	s_or_b32 exec_lo, exec_lo, s1
	s_wait_dscnt 0x0
	s_barrier_signal -1
	s_barrier_wait -1
	ds_load_b32 v20, v2
	s_wait_dscnt 0x0
	v_dual_mov_b32 v20, -1 :: v_dual_add_nc_u32 v19, v20, v19
	ds_store_b32 v2, v19
	s_wait_dscnt 0x0
	s_barrier_signal -1
	s_barrier_wait -1
	ds_load_b32 v19, v1
	s_and_saveexec_b32 s0, vcc_lo
; %bb.43:                               ;   in Loop: Header=BB43_8 Depth=1
	ds_load_b32 v20, v1 offset:4
; %bb.44:                               ;   in Loop: Header=BB43_8 Depth=1
	s_or_b32 exec_lo, exec_lo, s0
	s_wait_dscnt 0x0
	v_cmp_ne_u32_e64 s0, v19, v20
	v_cmp_lt_i32_e64 s1, -1, v19
	s_and_b32 s1, s1, s0
	s_delay_alu instid0(SALU_CYCLE_1)
	s_and_saveexec_b32 s0, s1
	s_cbranch_execz .LBB43_7
; %bb.45:                               ;   in Loop: Header=BB43_8 Depth=1
	s_wait_kmcnt 0x0
	global_load_b32 v20, v19, s[2:3] scale_offset
	ds_load_b32 v21, v2
	s_wait_loadcnt_dscnt 0x0
	v_add_nc_u32_e32 v20, v21, v20
	global_store_b32 v19, v20, s[2:3] scale_offset
	s_branch .LBB43_7
.LBB43_46:
	s_endpgm
	.section	.rodata,"a",@progbits
	.p2align	6, 0x0
	.amdhsa_kernel _ZN9rocsparseL29coomvn_segmented_loops_reduceILj256EiiiEEvT0_NS_24const_host_device_scalarIT2_EEPKS1_PKS3_PT1_b
		.amdhsa_group_segment_fixed_size 2048
		.amdhsa_private_segment_fixed_size 0
		.amdhsa_kernarg_size 44
		.amdhsa_user_sgpr_count 2
		.amdhsa_user_sgpr_dispatch_ptr 0
		.amdhsa_user_sgpr_queue_ptr 0
		.amdhsa_user_sgpr_kernarg_segment_ptr 1
		.amdhsa_user_sgpr_dispatch_id 0
		.amdhsa_user_sgpr_kernarg_preload_length 0
		.amdhsa_user_sgpr_kernarg_preload_offset 0
		.amdhsa_user_sgpr_private_segment_size 0
		.amdhsa_wavefront_size32 1
		.amdhsa_uses_dynamic_stack 0
		.amdhsa_enable_private_segment 0
		.amdhsa_system_sgpr_workgroup_id_x 1
		.amdhsa_system_sgpr_workgroup_id_y 0
		.amdhsa_system_sgpr_workgroup_id_z 0
		.amdhsa_system_sgpr_workgroup_info 0
		.amdhsa_system_vgpr_workitem_id 0
		.amdhsa_next_free_vgpr 23
		.amdhsa_next_free_sgpr 19
		.amdhsa_named_barrier_count 0
		.amdhsa_reserve_vcc 1
		.amdhsa_float_round_mode_32 0
		.amdhsa_float_round_mode_16_64 0
		.amdhsa_float_denorm_mode_32 3
		.amdhsa_float_denorm_mode_16_64 3
		.amdhsa_fp16_overflow 0
		.amdhsa_memory_ordered 1
		.amdhsa_forward_progress 1
		.amdhsa_inst_pref_size 13
		.amdhsa_round_robin_scheduling 0
		.amdhsa_exception_fp_ieee_invalid_op 0
		.amdhsa_exception_fp_denorm_src 0
		.amdhsa_exception_fp_ieee_div_zero 0
		.amdhsa_exception_fp_ieee_overflow 0
		.amdhsa_exception_fp_ieee_underflow 0
		.amdhsa_exception_fp_ieee_inexact 0
		.amdhsa_exception_int_div_zero 0
	.end_amdhsa_kernel
	.section	.text._ZN9rocsparseL29coomvn_segmented_loops_reduceILj256EiiiEEvT0_NS_24const_host_device_scalarIT2_EEPKS1_PKS3_PT1_b,"axG",@progbits,_ZN9rocsparseL29coomvn_segmented_loops_reduceILj256EiiiEEvT0_NS_24const_host_device_scalarIT2_EEPKS1_PKS3_PT1_b,comdat
.Lfunc_end43:
	.size	_ZN9rocsparseL29coomvn_segmented_loops_reduceILj256EiiiEEvT0_NS_24const_host_device_scalarIT2_EEPKS1_PKS3_PT1_b, .Lfunc_end43-_ZN9rocsparseL29coomvn_segmented_loops_reduceILj256EiiiEEvT0_NS_24const_host_device_scalarIT2_EEPKS1_PKS3_PT1_b
                                        ; -- End function
	.set _ZN9rocsparseL29coomvn_segmented_loops_reduceILj256EiiiEEvT0_NS_24const_host_device_scalarIT2_EEPKS1_PKS3_PT1_b.num_vgpr, 23
	.set _ZN9rocsparseL29coomvn_segmented_loops_reduceILj256EiiiEEvT0_NS_24const_host_device_scalarIT2_EEPKS1_PKS3_PT1_b.num_agpr, 0
	.set _ZN9rocsparseL29coomvn_segmented_loops_reduceILj256EiiiEEvT0_NS_24const_host_device_scalarIT2_EEPKS1_PKS3_PT1_b.numbered_sgpr, 19
	.set _ZN9rocsparseL29coomvn_segmented_loops_reduceILj256EiiiEEvT0_NS_24const_host_device_scalarIT2_EEPKS1_PKS3_PT1_b.num_named_barrier, 0
	.set _ZN9rocsparseL29coomvn_segmented_loops_reduceILj256EiiiEEvT0_NS_24const_host_device_scalarIT2_EEPKS1_PKS3_PT1_b.private_seg_size, 0
	.set _ZN9rocsparseL29coomvn_segmented_loops_reduceILj256EiiiEEvT0_NS_24const_host_device_scalarIT2_EEPKS1_PKS3_PT1_b.uses_vcc, 1
	.set _ZN9rocsparseL29coomvn_segmented_loops_reduceILj256EiiiEEvT0_NS_24const_host_device_scalarIT2_EEPKS1_PKS3_PT1_b.uses_flat_scratch, 0
	.set _ZN9rocsparseL29coomvn_segmented_loops_reduceILj256EiiiEEvT0_NS_24const_host_device_scalarIT2_EEPKS1_PKS3_PT1_b.has_dyn_sized_stack, 0
	.set _ZN9rocsparseL29coomvn_segmented_loops_reduceILj256EiiiEEvT0_NS_24const_host_device_scalarIT2_EEPKS1_PKS3_PT1_b.has_recursion, 0
	.set _ZN9rocsparseL29coomvn_segmented_loops_reduceILj256EiiiEEvT0_NS_24const_host_device_scalarIT2_EEPKS1_PKS3_PT1_b.has_indirect_call, 0
	.section	.AMDGPU.csdata,"",@progbits
; Kernel info:
; codeLenInByte = 1592
; TotalNumSgprs: 21
; NumVgprs: 23
; ScratchSize: 0
; MemoryBound: 0
; FloatMode: 240
; IeeeMode: 1
; LDSByteSize: 2048 bytes/workgroup (compile time only)
; SGPRBlocks: 0
; VGPRBlocks: 1
; NumSGPRsForWavesPerEU: 21
; NumVGPRsForWavesPerEU: 23
; NamedBarCnt: 0
; Occupancy: 16
; WaveLimiterHint : 0
; COMPUTE_PGM_RSRC2:SCRATCH_EN: 0
; COMPUTE_PGM_RSRC2:USER_SGPR: 2
; COMPUTE_PGM_RSRC2:TRAP_HANDLER: 0
; COMPUTE_PGM_RSRC2:TGID_X_EN: 1
; COMPUTE_PGM_RSRC2:TGID_Y_EN: 0
; COMPUTE_PGM_RSRC2:TGID_Z_EN: 0
; COMPUTE_PGM_RSRC2:TIDIG_COMP_CNT: 0
	.section	.text._ZN9rocsparseL13coomvt_kernelILj1024EiaaiiEEv20rocsparse_operation_lNS_24const_host_device_scalarIT4_EEPKT0_S7_PKT1_PKT2_PT3_21rocsparse_index_base_b,"axG",@progbits,_ZN9rocsparseL13coomvt_kernelILj1024EiaaiiEEv20rocsparse_operation_lNS_24const_host_device_scalarIT4_EEPKT0_S7_PKT1_PKT2_PT3_21rocsparse_index_base_b,comdat
	.globl	_ZN9rocsparseL13coomvt_kernelILj1024EiaaiiEEv20rocsparse_operation_lNS_24const_host_device_scalarIT4_EEPKT0_S7_PKT1_PKT2_PT3_21rocsparse_index_base_b ; -- Begin function _ZN9rocsparseL13coomvt_kernelILj1024EiaaiiEEv20rocsparse_operation_lNS_24const_host_device_scalarIT4_EEPKT0_S7_PKT1_PKT2_PT3_21rocsparse_index_base_b
	.p2align	8
	.type	_ZN9rocsparseL13coomvt_kernelILj1024EiaaiiEEv20rocsparse_operation_lNS_24const_host_device_scalarIT4_EEPKT0_S7_PKT1_PKT2_PT3_21rocsparse_index_base_b,@function
_ZN9rocsparseL13coomvt_kernelILj1024EiaaiiEEv20rocsparse_operation_lNS_24const_host_device_scalarIT4_EEPKT0_S7_PKT1_PKT2_PT3_21rocsparse_index_base_b: ; @_ZN9rocsparseL13coomvt_kernelILj1024EiaaiiEEv20rocsparse_operation_lNS_24const_host_device_scalarIT4_EEPKT0_S7_PKT1_PKT2_PT3_21rocsparse_index_base_b
; %bb.0:
	s_clause 0x1
	s_load_b64 s[2:3], s[0:1], 0x40
	s_load_b128 s[4:7], s[0:1], 0x8
	s_mov_b32 s8, 0
	s_wait_kmcnt 0x0
	s_bitcmp0_b32 s3, 0
	s_cbranch_scc0 .LBB44_2
; %bb.1:
	s_load_b32 s3, s[6:7], 0x0
	s_and_not1_b32 vcc_lo, exec_lo, s8
	s_cbranch_vccz .LBB44_3
	s_branch .LBB44_4
.LBB44_2:
                                        ; implicit-def: $sgpr3
.LBB44_3:
	s_wait_kmcnt 0x0
	s_mov_b32 s3, s6
.LBB44_4:
	s_wait_kmcnt 0x0
	s_cmp_eq_u32 s3, 0
	s_cbranch_scc1 .LBB44_7
; %bb.5:
	s_load_b32 s6, s[0:1], 0x54
	s_bfe_u32 s7, ttmp6, 0x4000c
	s_and_b32 s8, ttmp6, 15
	s_add_co_i32 s7, s7, 1
	s_getreg_b32 s9, hwreg(HW_REG_IB_STS2, 6, 4)
	s_mul_i32 s7, ttmp9, s7
	v_mov_b32_e32 v1, 0
	s_add_co_i32 s8, s8, s7
	s_wait_kmcnt 0x0
	s_and_b32 s6, s6, 0xffff
	s_cmp_eq_u32 s9, 0
	s_cselect_b32 s7, ttmp9, s8
	s_delay_alu instid0(SALU_CYCLE_1) | instskip(NEXT) | instid1(VALU_DEP_1)
	v_mad_u32 v0, s7, s6, v0
	v_cmp_gt_i64_e32 vcc_lo, s[4:5], v[0:1]
	s_and_saveexec_b32 s4, vcc_lo
	s_cbranch_execz .LBB44_7
; %bb.6:
	s_load_b256 s[4:11], s[0:1], 0x18
	v_lshlrev_b64_e32 v[2:3], 2, v[0:1]
	s_wait_xcnt 0x0
	s_load_b64 s[0:1], s[0:1], 0x38
	s_wait_kmcnt 0x0
	s_delay_alu instid0(VALU_DEP_1)
	v_add_nc_u64_e32 v[4:5], s[4:5], v[2:3]
	v_add_nc_u64_e32 v[0:1], s[8:9], v[0:1]
	global_load_b32 v4, v[4:5], off
	global_load_i8 v5, v[0:1], off
	s_wait_xcnt 0x0
	v_add_nc_u64_e32 v[0:1], s[6:7], v[2:3]
	s_wait_loadcnt 0x1
	v_subrev_nc_u32_e32 v4, s2, v4
	global_load_i8 v2, v4, s[10:11]
	global_load_b32 v3, v[0:1], off
	s_wait_loadcnt 0x2
	s_wait_xcnt 0x0
	v_mul_lo_u32 v0, s3, v5
	s_wait_loadcnt 0x1
	s_delay_alu instid0(VALU_DEP_1)
	v_mul_lo_u32 v0, v0, v2
	s_wait_loadcnt 0x0
	v_subrev_nc_u32_e32 v1, s2, v3
	global_atomic_add_u32 v1, v0, s[0:1] scale_offset scope:SCOPE_DEV
.LBB44_7:
	s_endpgm
	.section	.rodata,"a",@progbits
	.p2align	6, 0x0
	.amdhsa_kernel _ZN9rocsparseL13coomvt_kernelILj1024EiaaiiEEv20rocsparse_operation_lNS_24const_host_device_scalarIT4_EEPKT0_S7_PKT1_PKT2_PT3_21rocsparse_index_base_b
		.amdhsa_group_segment_fixed_size 0
		.amdhsa_private_segment_fixed_size 0
		.amdhsa_kernarg_size 328
		.amdhsa_user_sgpr_count 2
		.amdhsa_user_sgpr_dispatch_ptr 0
		.amdhsa_user_sgpr_queue_ptr 0
		.amdhsa_user_sgpr_kernarg_segment_ptr 1
		.amdhsa_user_sgpr_dispatch_id 0
		.amdhsa_user_sgpr_kernarg_preload_length 0
		.amdhsa_user_sgpr_kernarg_preload_offset 0
		.amdhsa_user_sgpr_private_segment_size 0
		.amdhsa_wavefront_size32 1
		.amdhsa_uses_dynamic_stack 0
		.amdhsa_enable_private_segment 0
		.amdhsa_system_sgpr_workgroup_id_x 1
		.amdhsa_system_sgpr_workgroup_id_y 0
		.amdhsa_system_sgpr_workgroup_id_z 0
		.amdhsa_system_sgpr_workgroup_info 0
		.amdhsa_system_vgpr_workitem_id 0
		.amdhsa_next_free_vgpr 6
		.amdhsa_next_free_sgpr 12
		.amdhsa_named_barrier_count 0
		.amdhsa_reserve_vcc 1
		.amdhsa_float_round_mode_32 0
		.amdhsa_float_round_mode_16_64 0
		.amdhsa_float_denorm_mode_32 3
		.amdhsa_float_denorm_mode_16_64 3
		.amdhsa_fp16_overflow 0
		.amdhsa_memory_ordered 1
		.amdhsa_forward_progress 1
		.amdhsa_inst_pref_size 3
		.amdhsa_round_robin_scheduling 0
		.amdhsa_exception_fp_ieee_invalid_op 0
		.amdhsa_exception_fp_denorm_src 0
		.amdhsa_exception_fp_ieee_div_zero 0
		.amdhsa_exception_fp_ieee_overflow 0
		.amdhsa_exception_fp_ieee_underflow 0
		.amdhsa_exception_fp_ieee_inexact 0
		.amdhsa_exception_int_div_zero 0
	.end_amdhsa_kernel
	.section	.text._ZN9rocsparseL13coomvt_kernelILj1024EiaaiiEEv20rocsparse_operation_lNS_24const_host_device_scalarIT4_EEPKT0_S7_PKT1_PKT2_PT3_21rocsparse_index_base_b,"axG",@progbits,_ZN9rocsparseL13coomvt_kernelILj1024EiaaiiEEv20rocsparse_operation_lNS_24const_host_device_scalarIT4_EEPKT0_S7_PKT1_PKT2_PT3_21rocsparse_index_base_b,comdat
.Lfunc_end44:
	.size	_ZN9rocsparseL13coomvt_kernelILj1024EiaaiiEEv20rocsparse_operation_lNS_24const_host_device_scalarIT4_EEPKT0_S7_PKT1_PKT2_PT3_21rocsparse_index_base_b, .Lfunc_end44-_ZN9rocsparseL13coomvt_kernelILj1024EiaaiiEEv20rocsparse_operation_lNS_24const_host_device_scalarIT4_EEPKT0_S7_PKT1_PKT2_PT3_21rocsparse_index_base_b
                                        ; -- End function
	.set _ZN9rocsparseL13coomvt_kernelILj1024EiaaiiEEv20rocsparse_operation_lNS_24const_host_device_scalarIT4_EEPKT0_S7_PKT1_PKT2_PT3_21rocsparse_index_base_b.num_vgpr, 6
	.set _ZN9rocsparseL13coomvt_kernelILj1024EiaaiiEEv20rocsparse_operation_lNS_24const_host_device_scalarIT4_EEPKT0_S7_PKT1_PKT2_PT3_21rocsparse_index_base_b.num_agpr, 0
	.set _ZN9rocsparseL13coomvt_kernelILj1024EiaaiiEEv20rocsparse_operation_lNS_24const_host_device_scalarIT4_EEPKT0_S7_PKT1_PKT2_PT3_21rocsparse_index_base_b.numbered_sgpr, 12
	.set _ZN9rocsparseL13coomvt_kernelILj1024EiaaiiEEv20rocsparse_operation_lNS_24const_host_device_scalarIT4_EEPKT0_S7_PKT1_PKT2_PT3_21rocsparse_index_base_b.num_named_barrier, 0
	.set _ZN9rocsparseL13coomvt_kernelILj1024EiaaiiEEv20rocsparse_operation_lNS_24const_host_device_scalarIT4_EEPKT0_S7_PKT1_PKT2_PT3_21rocsparse_index_base_b.private_seg_size, 0
	.set _ZN9rocsparseL13coomvt_kernelILj1024EiaaiiEEv20rocsparse_operation_lNS_24const_host_device_scalarIT4_EEPKT0_S7_PKT1_PKT2_PT3_21rocsparse_index_base_b.uses_vcc, 1
	.set _ZN9rocsparseL13coomvt_kernelILj1024EiaaiiEEv20rocsparse_operation_lNS_24const_host_device_scalarIT4_EEPKT0_S7_PKT1_PKT2_PT3_21rocsparse_index_base_b.uses_flat_scratch, 0
	.set _ZN9rocsparseL13coomvt_kernelILj1024EiaaiiEEv20rocsparse_operation_lNS_24const_host_device_scalarIT4_EEPKT0_S7_PKT1_PKT2_PT3_21rocsparse_index_base_b.has_dyn_sized_stack, 0
	.set _ZN9rocsparseL13coomvt_kernelILj1024EiaaiiEEv20rocsparse_operation_lNS_24const_host_device_scalarIT4_EEPKT0_S7_PKT1_PKT2_PT3_21rocsparse_index_base_b.has_recursion, 0
	.set _ZN9rocsparseL13coomvt_kernelILj1024EiaaiiEEv20rocsparse_operation_lNS_24const_host_device_scalarIT4_EEPKT0_S7_PKT1_PKT2_PT3_21rocsparse_index_base_b.has_indirect_call, 0
	.section	.AMDGPU.csdata,"",@progbits
; Kernel info:
; codeLenInByte = 320
; TotalNumSgprs: 14
; NumVgprs: 6
; ScratchSize: 0
; MemoryBound: 0
; FloatMode: 240
; IeeeMode: 1
; LDSByteSize: 0 bytes/workgroup (compile time only)
; SGPRBlocks: 0
; VGPRBlocks: 0
; NumSGPRsForWavesPerEU: 14
; NumVGPRsForWavesPerEU: 6
; NamedBarCnt: 0
; Occupancy: 16
; WaveLimiterHint : 1
; COMPUTE_PGM_RSRC2:SCRATCH_EN: 0
; COMPUTE_PGM_RSRC2:USER_SGPR: 2
; COMPUTE_PGM_RSRC2:TRAP_HANDLER: 0
; COMPUTE_PGM_RSRC2:TGID_X_EN: 1
; COMPUTE_PGM_RSRC2:TGID_Y_EN: 0
; COMPUTE_PGM_RSRC2:TGID_Z_EN: 0
; COMPUTE_PGM_RSRC2:TIDIG_COMP_CNT: 0
	.section	.text._ZN9rocsparseL19coomvn_atomic_loopsILj256ELj1EiaaiiEEvlNS_24const_host_device_scalarIT5_EEPKT1_S6_PKT2_PKT3_PT4_21rocsparse_index_base_b,"axG",@progbits,_ZN9rocsparseL19coomvn_atomic_loopsILj256ELj1EiaaiiEEvlNS_24const_host_device_scalarIT5_EEPKT1_S6_PKT2_PKT3_PT4_21rocsparse_index_base_b,comdat
	.globl	_ZN9rocsparseL19coomvn_atomic_loopsILj256ELj1EiaaiiEEvlNS_24const_host_device_scalarIT5_EEPKT1_S6_PKT2_PKT3_PT4_21rocsparse_index_base_b ; -- Begin function _ZN9rocsparseL19coomvn_atomic_loopsILj256ELj1EiaaiiEEvlNS_24const_host_device_scalarIT5_EEPKT1_S6_PKT2_PKT3_PT4_21rocsparse_index_base_b
	.p2align	8
	.type	_ZN9rocsparseL19coomvn_atomic_loopsILj256ELj1EiaaiiEEvlNS_24const_host_device_scalarIT5_EEPKT1_S6_PKT2_PKT3_PT4_21rocsparse_index_base_b,@function
_ZN9rocsparseL19coomvn_atomic_loopsILj256ELj1EiaaiiEEvlNS_24const_host_device_scalarIT5_EEPKT1_S6_PKT2_PKT3_PT4_21rocsparse_index_base_b: ; @_ZN9rocsparseL19coomvn_atomic_loopsILj256ELj1EiaaiiEEvlNS_24const_host_device_scalarIT5_EEPKT1_S6_PKT2_PKT3_PT4_21rocsparse_index_base_b
; %bb.0:
	s_clause 0x1
	s_load_b64 s[2:3], s[0:1], 0x38
	s_load_b128 s[4:7], s[0:1], 0x0
	s_wait_kmcnt 0x0
	s_bitcmp0_b32 s3, 0
	s_mov_b32 s3, 0
	s_cbranch_scc0 .LBB45_2
; %bb.1:
	s_load_b32 s7, s[6:7], 0x0
	s_and_not1_b32 vcc_lo, exec_lo, s3
	s_cbranch_vccz .LBB45_3
	s_branch .LBB45_4
.LBB45_2:
                                        ; implicit-def: $sgpr7
.LBB45_3:
	s_wait_kmcnt 0x0
	s_mov_b32 s7, s6
.LBB45_4:
	s_wait_kmcnt 0x0
	s_cmp_eq_u32 s7, 0
	s_cbranch_scc1 .LBB45_44
; %bb.5:
	s_bfe_u32 s3, ttmp6, 0x4000c
	s_and_b32 s6, ttmp6, 15
	s_add_co_i32 s3, s3, 1
	s_getreg_b32 s8, hwreg(HW_REG_IB_STS2, 6, 4)
	s_mul_i32 s3, ttmp9, s3
	v_dual_mov_b32 v3, 0 :: v_dual_mov_b32 v1, -1
	s_add_co_i32 s6, s6, s3
	s_cmp_eq_u32 s8, 0
	s_cselect_b32 s3, ttmp9, s6
	s_delay_alu instid0(SALU_CYCLE_1) | instskip(SKIP_1) | instid1(VALU_DEP_1)
	v_lshl_or_b32 v2, s3, 8, v0
	s_mov_b32 s3, exec_lo
	v_cmpx_gt_i64_e64 s[4:5], v[2:3]
	s_cbranch_execz .LBB45_7
; %bb.6:
	s_load_b256 s[8:15], s[0:1], 0x10
	v_lshlrev_b64_e32 v[4:5], 2, v[2:3]
	s_wait_kmcnt 0x0
	s_delay_alu instid0(VALU_DEP_1)
	v_add_nc_u64_e32 v[6:7], s[10:11], v[4:5]
	v_add_nc_u64_e32 v[4:5], s[8:9], v[4:5]
	;; [unrolled: 1-line block ×3, first 2 shown]
	global_load_b32 v1, v[6:7], off th:TH_LOAD_NT
	s_wait_loadcnt 0x0
	v_subrev_nc_u32_e32 v1, s2, v1
	global_load_b32 v6, v[4:5], off th:TH_LOAD_NT
	global_load_i8 v7, v[2:3], off th:TH_LOAD_NT
	global_load_i8 v8, v1, s[14:15]
	s_wait_loadcnt 0x2
	s_wait_xcnt 0x0
	v_subrev_nc_u32_e32 v1, s2, v6
	s_wait_loadcnt 0x0
	v_mul_i32_i24_e32 v3, v8, v7
.LBB45_7:
	s_or_b32 exec_lo, exec_lo, s3
	v_lshlrev_b32_e32 v2, 2, v0
	s_mov_b32 s2, exec_lo
	s_delay_alu instid0(VALU_DEP_1)
	v_or_b32_e32 v4, 0x400, v2
	ds_store_2addr_stride64_b32 v2, v1, v3 offset1:4
	s_wait_dscnt 0x0
	s_barrier_signal -1
	s_barrier_wait -1
	v_cmpx_ne_u32_e32 0, v0
	s_cbranch_execz .LBB45_11
; %bb.8:
	v_add_nc_u32_e32 v5, -4, v2
	s_mov_b32 s3, exec_lo
	ds_load_b32 v5, v5
	s_wait_dscnt 0x0
	v_cmpx_eq_u32_e64 v1, v5
	s_cbranch_execz .LBB45_10
; %bb.9:
	v_add_nc_u32_e32 v5, -4, v4
	ds_load_b32 v5, v5
	s_wait_dscnt 0x0
	v_add_nc_u32_e32 v3, v5, v3
.LBB45_10:
	s_or_b32 exec_lo, exec_lo, s3
.LBB45_11:
	s_delay_alu instid0(SALU_CYCLE_1) | instskip(NEXT) | instid1(SALU_CYCLE_1)
	s_or_b32 exec_lo, exec_lo, s2
	s_mov_b32 s2, exec_lo
	s_barrier_signal -1
	s_barrier_wait -1
	ds_store_b32 v4, v3
	s_wait_dscnt 0x0
	s_barrier_signal -1
	s_barrier_wait -1
	v_cmpx_lt_u32_e32 1, v0
	s_cbranch_execz .LBB45_15
; %bb.12:
	v_add_nc_u32_e32 v5, -8, v2
	s_mov_b32 s3, exec_lo
	ds_load_b32 v5, v5
	s_wait_dscnt 0x0
	v_cmpx_eq_u32_e64 v1, v5
	s_cbranch_execz .LBB45_14
; %bb.13:
	v_add_nc_u32_e32 v5, -8, v4
	ds_load_b32 v5, v5
	s_wait_dscnt 0x0
	v_add_nc_u32_e32 v3, v5, v3
.LBB45_14:
	s_or_b32 exec_lo, exec_lo, s3
.LBB45_15:
	s_delay_alu instid0(SALU_CYCLE_1) | instskip(NEXT) | instid1(SALU_CYCLE_1)
	s_or_b32 exec_lo, exec_lo, s2
	s_mov_b32 s2, exec_lo
	s_barrier_signal -1
	s_barrier_wait -1
	ds_store_b32 v4, v3
	s_wait_dscnt 0x0
	s_barrier_signal -1
	s_barrier_wait -1
	v_cmpx_lt_u32_e32 3, v0
	;; [unrolled: 26-line block ×3, first 2 shown]
	s_cbranch_execz .LBB45_23
; %bb.20:
	v_subrev_nc_u32_e32 v5, 32, v2
	s_mov_b32 s3, exec_lo
	ds_load_b32 v5, v5
	s_wait_dscnt 0x0
	v_cmpx_eq_u32_e64 v1, v5
	s_cbranch_execz .LBB45_22
; %bb.21:
	v_subrev_nc_u32_e32 v5, 32, v4
	ds_load_b32 v5, v5
	s_wait_dscnt 0x0
	v_add_nc_u32_e32 v3, v5, v3
.LBB45_22:
	s_or_b32 exec_lo, exec_lo, s3
.LBB45_23:
	s_delay_alu instid0(SALU_CYCLE_1) | instskip(NEXT) | instid1(SALU_CYCLE_1)
	s_or_b32 exec_lo, exec_lo, s2
	s_mov_b32 s2, exec_lo
	s_barrier_signal -1
	s_barrier_wait -1
	ds_store_b32 v4, v3
	s_wait_dscnt 0x0
	s_barrier_signal -1
	s_barrier_wait -1
	v_cmpx_lt_u32_e32 15, v0
	s_cbranch_execz .LBB45_27
; %bb.24:
	v_subrev_nc_u32_e32 v5, 64, v2
	s_mov_b32 s3, exec_lo
	ds_load_b32 v5, v5
	s_wait_dscnt 0x0
	v_cmpx_eq_u32_e64 v1, v5
	s_cbranch_execz .LBB45_26
; %bb.25:
	v_subrev_nc_u32_e32 v5, 64, v4
	ds_load_b32 v5, v5
	s_wait_dscnt 0x0
	v_add_nc_u32_e32 v3, v5, v3
.LBB45_26:
	s_or_b32 exec_lo, exec_lo, s3
.LBB45_27:
	s_delay_alu instid0(SALU_CYCLE_1) | instskip(NEXT) | instid1(SALU_CYCLE_1)
	s_or_b32 exec_lo, exec_lo, s2
	s_mov_b32 s2, exec_lo
	s_barrier_signal -1
	s_barrier_wait -1
	ds_store_b32 v4, v3
	s_wait_dscnt 0x0
	s_barrier_signal -1
	s_barrier_wait -1
	v_cmpx_lt_u32_e32 31, v0
	s_cbranch_execz .LBB45_31
; %bb.28:
	v_add_nc_u32_e32 v5, 0xffffff80, v2
	s_mov_b32 s3, exec_lo
	ds_load_b32 v5, v5
	s_wait_dscnt 0x0
	v_cmpx_eq_u32_e64 v1, v5
	s_cbranch_execz .LBB45_30
; %bb.29:
	v_add_nc_u32_e32 v5, 0xffffff80, v4
	ds_load_b32 v5, v5
	s_wait_dscnt 0x0
	v_add_nc_u32_e32 v3, v5, v3
.LBB45_30:
	s_or_b32 exec_lo, exec_lo, s3
.LBB45_31:
	s_delay_alu instid0(SALU_CYCLE_1) | instskip(NEXT) | instid1(SALU_CYCLE_1)
	s_or_b32 exec_lo, exec_lo, s2
	s_mov_b32 s2, exec_lo
	s_barrier_signal -1
	s_barrier_wait -1
	ds_store_b32 v4, v3
	s_wait_dscnt 0x0
	s_barrier_signal -1
	s_barrier_wait -1
	v_cmpx_lt_u32_e32 63, v0
	s_cbranch_execz .LBB45_35
; %bb.32:
	v_add_nc_u32_e32 v5, 0xffffff00, v2
	s_mov_b32 s3, exec_lo
	ds_load_b32 v5, v5
	s_wait_dscnt 0x0
	v_cmpx_eq_u32_e64 v1, v5
	s_cbranch_execz .LBB45_34
; %bb.33:
	v_add_nc_u32_e32 v5, 0xffffff00, v4
	ds_load_b32 v5, v5
	s_wait_dscnt 0x0
	v_add_nc_u32_e32 v3, v5, v3
.LBB45_34:
	s_or_b32 exec_lo, exec_lo, s3
.LBB45_35:
	s_delay_alu instid0(SALU_CYCLE_1)
	s_or_b32 exec_lo, exec_lo, s2
	s_load_b64 s[2:3], s[0:1], 0x30
	s_wait_xcnt 0x0
	s_mov_b32 s0, exec_lo
	s_barrier_signal -1
	s_barrier_wait -1
	ds_store_b32 v4, v3
	s_wait_dscnt 0x0
	s_barrier_signal -1
	s_barrier_wait -1
	v_cmpx_lt_u32_e32 0x7f, v0
	s_cbranch_execz .LBB45_39
; %bb.36:
	v_add_nc_u32_e32 v5, 0xfffffe00, v2
	s_mov_b32 s1, exec_lo
	ds_load_b32 v5, v5
	s_wait_dscnt 0x0
	v_cmpx_eq_u32_e64 v1, v5
	s_cbranch_execz .LBB45_38
; %bb.37:
	v_add_nc_u32_e32 v5, 0xfffffe00, v4
	ds_load_b32 v5, v5
	s_wait_dscnt 0x0
	v_add_nc_u32_e32 v3, v5, v3
.LBB45_38:
	s_or_b32 exec_lo, exec_lo, s1
.LBB45_39:
	s_delay_alu instid0(SALU_CYCLE_1) | instskip(NEXT) | instid1(SALU_CYCLE_1)
	s_or_b32 exec_lo, exec_lo, s0
	s_mov_b32 s1, exec_lo
	s_barrier_signal -1
	s_barrier_wait -1
	ds_store_b32 v4, v3
	s_wait_dscnt 0x0
	s_barrier_signal -1
	s_barrier_wait -1
	v_cmpx_gt_u32_e32 0xff, v0
	s_cbranch_execz .LBB45_42
; %bb.40:
	ds_load_b32 v2, v2 offset:4
	v_cmp_lt_i32_e64 s0, -1, v1
	s_wait_dscnt 0x0
	v_cmp_ne_u32_e32 vcc_lo, v1, v2
	s_and_b32 s0, s0, vcc_lo
	s_delay_alu instid0(SALU_CYCLE_1)
	s_and_b32 exec_lo, exec_lo, s0
	s_cbranch_execz .LBB45_42
; %bb.41:
	v_mul_lo_u32 v2, v3, s7
	s_wait_kmcnt 0x0
	global_atomic_add_u32 v1, v2, s[2:3] scale_offset scope:SCOPE_DEV
.LBB45_42:
	s_wait_xcnt 0x0
	s_or_b32 exec_lo, exec_lo, s1
	v_cmp_eq_u32_e32 vcc_lo, 0xff, v0
	v_cmp_lt_i32_e64 s0, -1, v1
	s_and_b32 s0, vcc_lo, s0
	s_delay_alu instid0(SALU_CYCLE_1)
	s_and_saveexec_b32 s1, s0
	s_cbranch_execz .LBB45_44
; %bb.43:
	v_mul_lo_u32 v0, v3, s7
	s_wait_kmcnt 0x0
	global_atomic_add_u32 v1, v0, s[2:3] scale_offset scope:SCOPE_DEV
.LBB45_44:
	s_endpgm
	.section	.rodata,"a",@progbits
	.p2align	6, 0x0
	.amdhsa_kernel _ZN9rocsparseL19coomvn_atomic_loopsILj256ELj1EiaaiiEEvlNS_24const_host_device_scalarIT5_EEPKT1_S6_PKT2_PKT3_PT4_21rocsparse_index_base_b
		.amdhsa_group_segment_fixed_size 2048
		.amdhsa_private_segment_fixed_size 0
		.amdhsa_kernarg_size 64
		.amdhsa_user_sgpr_count 2
		.amdhsa_user_sgpr_dispatch_ptr 0
		.amdhsa_user_sgpr_queue_ptr 0
		.amdhsa_user_sgpr_kernarg_segment_ptr 1
		.amdhsa_user_sgpr_dispatch_id 0
		.amdhsa_user_sgpr_kernarg_preload_length 0
		.amdhsa_user_sgpr_kernarg_preload_offset 0
		.amdhsa_user_sgpr_private_segment_size 0
		.amdhsa_wavefront_size32 1
		.amdhsa_uses_dynamic_stack 0
		.amdhsa_enable_private_segment 0
		.amdhsa_system_sgpr_workgroup_id_x 1
		.amdhsa_system_sgpr_workgroup_id_y 0
		.amdhsa_system_sgpr_workgroup_id_z 0
		.amdhsa_system_sgpr_workgroup_info 0
		.amdhsa_system_vgpr_workitem_id 0
		.amdhsa_next_free_vgpr 9
		.amdhsa_next_free_sgpr 16
		.amdhsa_named_barrier_count 0
		.amdhsa_reserve_vcc 1
		.amdhsa_float_round_mode_32 0
		.amdhsa_float_round_mode_16_64 0
		.amdhsa_float_denorm_mode_32 3
		.amdhsa_float_denorm_mode_16_64 3
		.amdhsa_fp16_overflow 0
		.amdhsa_memory_ordered 1
		.amdhsa_forward_progress 1
		.amdhsa_inst_pref_size 11
		.amdhsa_round_robin_scheduling 0
		.amdhsa_exception_fp_ieee_invalid_op 0
		.amdhsa_exception_fp_denorm_src 0
		.amdhsa_exception_fp_ieee_div_zero 0
		.amdhsa_exception_fp_ieee_overflow 0
		.amdhsa_exception_fp_ieee_underflow 0
		.amdhsa_exception_fp_ieee_inexact 0
		.amdhsa_exception_int_div_zero 0
	.end_amdhsa_kernel
	.section	.text._ZN9rocsparseL19coomvn_atomic_loopsILj256ELj1EiaaiiEEvlNS_24const_host_device_scalarIT5_EEPKT1_S6_PKT2_PKT3_PT4_21rocsparse_index_base_b,"axG",@progbits,_ZN9rocsparseL19coomvn_atomic_loopsILj256ELj1EiaaiiEEvlNS_24const_host_device_scalarIT5_EEPKT1_S6_PKT2_PKT3_PT4_21rocsparse_index_base_b,comdat
.Lfunc_end45:
	.size	_ZN9rocsparseL19coomvn_atomic_loopsILj256ELj1EiaaiiEEvlNS_24const_host_device_scalarIT5_EEPKT1_S6_PKT2_PKT3_PT4_21rocsparse_index_base_b, .Lfunc_end45-_ZN9rocsparseL19coomvn_atomic_loopsILj256ELj1EiaaiiEEvlNS_24const_host_device_scalarIT5_EEPKT1_S6_PKT2_PKT3_PT4_21rocsparse_index_base_b
                                        ; -- End function
	.set _ZN9rocsparseL19coomvn_atomic_loopsILj256ELj1EiaaiiEEvlNS_24const_host_device_scalarIT5_EEPKT1_S6_PKT2_PKT3_PT4_21rocsparse_index_base_b.num_vgpr, 9
	.set _ZN9rocsparseL19coomvn_atomic_loopsILj256ELj1EiaaiiEEvlNS_24const_host_device_scalarIT5_EEPKT1_S6_PKT2_PKT3_PT4_21rocsparse_index_base_b.num_agpr, 0
	.set _ZN9rocsparseL19coomvn_atomic_loopsILj256ELj1EiaaiiEEvlNS_24const_host_device_scalarIT5_EEPKT1_S6_PKT2_PKT3_PT4_21rocsparse_index_base_b.numbered_sgpr, 16
	.set _ZN9rocsparseL19coomvn_atomic_loopsILj256ELj1EiaaiiEEvlNS_24const_host_device_scalarIT5_EEPKT1_S6_PKT2_PKT3_PT4_21rocsparse_index_base_b.num_named_barrier, 0
	.set _ZN9rocsparseL19coomvn_atomic_loopsILj256ELj1EiaaiiEEvlNS_24const_host_device_scalarIT5_EEPKT1_S6_PKT2_PKT3_PT4_21rocsparse_index_base_b.private_seg_size, 0
	.set _ZN9rocsparseL19coomvn_atomic_loopsILj256ELj1EiaaiiEEvlNS_24const_host_device_scalarIT5_EEPKT1_S6_PKT2_PKT3_PT4_21rocsparse_index_base_b.uses_vcc, 1
	.set _ZN9rocsparseL19coomvn_atomic_loopsILj256ELj1EiaaiiEEvlNS_24const_host_device_scalarIT5_EEPKT1_S6_PKT2_PKT3_PT4_21rocsparse_index_base_b.uses_flat_scratch, 0
	.set _ZN9rocsparseL19coomvn_atomic_loopsILj256ELj1EiaaiiEEvlNS_24const_host_device_scalarIT5_EEPKT1_S6_PKT2_PKT3_PT4_21rocsparse_index_base_b.has_dyn_sized_stack, 0
	.set _ZN9rocsparseL19coomvn_atomic_loopsILj256ELj1EiaaiiEEvlNS_24const_host_device_scalarIT5_EEPKT1_S6_PKT2_PKT3_PT4_21rocsparse_index_base_b.has_recursion, 0
	.set _ZN9rocsparseL19coomvn_atomic_loopsILj256ELj1EiaaiiEEvlNS_24const_host_device_scalarIT5_EEPKT1_S6_PKT2_PKT3_PT4_21rocsparse_index_base_b.has_indirect_call, 0
	.section	.AMDGPU.csdata,"",@progbits
; Kernel info:
; codeLenInByte = 1320
; TotalNumSgprs: 18
; NumVgprs: 9
; ScratchSize: 0
; MemoryBound: 0
; FloatMode: 240
; IeeeMode: 1
; LDSByteSize: 2048 bytes/workgroup (compile time only)
; SGPRBlocks: 0
; VGPRBlocks: 0
; NumSGPRsForWavesPerEU: 18
; NumVGPRsForWavesPerEU: 9
; NamedBarCnt: 0
; Occupancy: 16
; WaveLimiterHint : 1
; COMPUTE_PGM_RSRC2:SCRATCH_EN: 0
; COMPUTE_PGM_RSRC2:USER_SGPR: 2
; COMPUTE_PGM_RSRC2:TRAP_HANDLER: 0
; COMPUTE_PGM_RSRC2:TGID_X_EN: 1
; COMPUTE_PGM_RSRC2:TGID_Y_EN: 0
; COMPUTE_PGM_RSRC2:TGID_Z_EN: 0
; COMPUTE_PGM_RSRC2:TIDIG_COMP_CNT: 0
	.section	.text._ZN9rocsparseL19coomvn_atomic_loopsILj256ELj2EiaaiiEEvlNS_24const_host_device_scalarIT5_EEPKT1_S6_PKT2_PKT3_PT4_21rocsparse_index_base_b,"axG",@progbits,_ZN9rocsparseL19coomvn_atomic_loopsILj256ELj2EiaaiiEEvlNS_24const_host_device_scalarIT5_EEPKT1_S6_PKT2_PKT3_PT4_21rocsparse_index_base_b,comdat
	.globl	_ZN9rocsparseL19coomvn_atomic_loopsILj256ELj2EiaaiiEEvlNS_24const_host_device_scalarIT5_EEPKT1_S6_PKT2_PKT3_PT4_21rocsparse_index_base_b ; -- Begin function _ZN9rocsparseL19coomvn_atomic_loopsILj256ELj2EiaaiiEEvlNS_24const_host_device_scalarIT5_EEPKT1_S6_PKT2_PKT3_PT4_21rocsparse_index_base_b
	.p2align	8
	.type	_ZN9rocsparseL19coomvn_atomic_loopsILj256ELj2EiaaiiEEvlNS_24const_host_device_scalarIT5_EEPKT1_S6_PKT2_PKT3_PT4_21rocsparse_index_base_b,@function
_ZN9rocsparseL19coomvn_atomic_loopsILj256ELj2EiaaiiEEvlNS_24const_host_device_scalarIT5_EEPKT1_S6_PKT2_PKT3_PT4_21rocsparse_index_base_b: ; @_ZN9rocsparseL19coomvn_atomic_loopsILj256ELj2EiaaiiEEvlNS_24const_host_device_scalarIT5_EEPKT1_S6_PKT2_PKT3_PT4_21rocsparse_index_base_b
; %bb.0:
	s_clause 0x1
	s_load_b64 s[24:25], s[0:1], 0x38
	s_load_b128 s[20:23], s[0:1], 0x0
	s_mov_b32 s2, 0
	s_wait_kmcnt 0x0
	s_bitcmp0_b32 s25, 0
	s_cbranch_scc0 .LBB46_2
; %bb.1:
	s_load_b32 s11, s[22:23], 0x0
	s_and_not1_b32 vcc_lo, exec_lo, s2
	s_cbranch_vccz .LBB46_3
	s_branch .LBB46_4
.LBB46_2:
                                        ; implicit-def: $sgpr11
.LBB46_3:
	s_wait_kmcnt 0x0
	s_mov_b32 s11, s22
.LBB46_4:
	s_wait_kmcnt 0x0
	s_cmp_eq_u32 s11, 0
	s_cbranch_scc1 .LBB46_90
; %bb.5:
	s_load_b256 s[12:19], s[0:1], 0x10
	s_bfe_u32 s2, ttmp6, 0x4000c
	s_and_b32 s3, ttmp6, 15
	s_add_co_i32 s2, s2, 1
	s_getreg_b32 s4, hwreg(HW_REG_IB_STS2, 6, 4)
	s_mul_i32 s2, ttmp9, s2
	v_dual_mov_b32 v7, 0 :: v_dual_mov_b32 v17, -1
	s_add_co_i32 s3, s3, s2
	s_cmp_eq_u32 s4, 0
	s_cselect_b32 s2, ttmp9, s3
	s_delay_alu instid0(VALU_DEP_1) | instskip(SKIP_2) | instid1(VALU_DEP_1)
	v_mov_b32_e32 v18, v7
	v_lshl_or_b32 v6, s2, 9, v0
	s_mov_b32 s2, exec_lo
	v_lshlrev_b64_e32 v[4:5], 2, v[6:7]
	s_wait_kmcnt 0x0
	v_add_nc_u64_e32 v[2:3], s[16:17], v[6:7]
	v_cmpx_gt_i64_e64 s[20:21], v[6:7]
	s_cbranch_execz .LBB46_7
; %bb.6:
	s_delay_alu instid0(VALU_DEP_3)
	v_add_nc_u64_e32 v[8:9], s[14:15], v[4:5]
	global_load_b32 v1, v[8:9], off th:TH_LOAD_NT
	s_wait_xcnt 0x0
	v_add_nc_u64_e32 v[8:9], s[12:13], v[4:5]
	s_wait_loadcnt 0x0
	v_subrev_nc_u32_e32 v1, s24, v1
	global_load_b32 v10, v[8:9], off th:TH_LOAD_NT
	global_load_i8 v11, v[2:3], off th:TH_LOAD_NT
	global_load_i8 v12, v1, s[18:19]
	s_wait_loadcnt 0x2
	v_subrev_nc_u32_e32 v17, s24, v10
	s_wait_loadcnt 0x0
	v_mul_i32_i24_e32 v18, v12, v11
.LBB46_7:
	s_or_b32 exec_lo, exec_lo, s2
	v_lshlrev_b32_e32 v1, 2, v0
	v_cmp_ne_u32_e64 s2, 0, v0
	v_cmp_eq_u32_e32 vcc_lo, 0, v0
	s_delay_alu instid0(VALU_DEP_3)
	v_or_b32_e32 v8, 0x400, v1
	v_add_nc_u32_e32 v9, -4, v1
	ds_store_2addr_stride64_b32 v1, v17, v18 offset1:4
	s_wait_dscnt 0x0
	s_barrier_signal -1
	s_barrier_wait -1
	s_and_saveexec_b32 s4, s2
	s_cbranch_execz .LBB46_11
; %bb.8:
	ds_load_b32 v10, v9
	s_mov_b32 s5, exec_lo
	s_wait_dscnt 0x0
	v_cmpx_eq_u32_e64 v17, v10
	s_cbranch_execz .LBB46_10
; %bb.9:
	v_add_nc_u32_e32 v10, -4, v8
	ds_load_b32 v10, v10
	s_wait_dscnt 0x0
	v_add_nc_u32_e32 v18, v10, v18
.LBB46_10:
	s_or_b32 exec_lo, exec_lo, s5
.LBB46_11:
	s_delay_alu instid0(SALU_CYCLE_1)
	s_or_b32 exec_lo, exec_lo, s4
	v_cmp_lt_u32_e64 s3, 1, v0
	v_add_nc_u32_e32 v10, -8, v1
	s_barrier_signal -1
	s_barrier_wait -1
	ds_store_b32 v8, v18
	s_wait_dscnt 0x0
	s_barrier_signal -1
	s_barrier_wait -1
	s_and_saveexec_b32 s5, s3
	s_cbranch_execz .LBB46_15
; %bb.12:
	ds_load_b32 v11, v10
	s_mov_b32 s6, exec_lo
	s_wait_dscnt 0x0
	v_cmpx_eq_u32_e64 v17, v11
	s_cbranch_execz .LBB46_14
; %bb.13:
	v_add_nc_u32_e32 v11, -8, v8
	ds_load_b32 v11, v11
	s_wait_dscnt 0x0
	v_add_nc_u32_e32 v18, v11, v18
.LBB46_14:
	s_or_b32 exec_lo, exec_lo, s6
.LBB46_15:
	s_delay_alu instid0(SALU_CYCLE_1)
	s_or_b32 exec_lo, exec_lo, s5
	v_cmp_lt_u32_e64 s4, 3, v0
	v_add_nc_u32_e32 v11, -16, v1
	s_barrier_signal -1
	s_barrier_wait -1
	ds_store_b32 v8, v18
	s_wait_dscnt 0x0
	s_barrier_signal -1
	s_barrier_wait -1
	s_and_saveexec_b32 s6, s4
	s_cbranch_execz .LBB46_19
; %bb.16:
	ds_load_b32 v12, v11
	s_mov_b32 s7, exec_lo
	s_wait_dscnt 0x0
	v_cmpx_eq_u32_e64 v17, v12
	s_cbranch_execz .LBB46_18
; %bb.17:
	v_add_nc_u32_e32 v12, -16, v8
	ds_load_b32 v12, v12
	s_wait_dscnt 0x0
	v_add_nc_u32_e32 v18, v12, v18
.LBB46_18:
	s_or_b32 exec_lo, exec_lo, s7
.LBB46_19:
	s_delay_alu instid0(SALU_CYCLE_1)
	s_or_b32 exec_lo, exec_lo, s6
	v_cmp_lt_u32_e64 s5, 7, v0
	v_subrev_nc_u32_e32 v12, 32, v1
	s_barrier_signal -1
	s_barrier_wait -1
	ds_store_b32 v8, v18
	s_wait_dscnt 0x0
	s_barrier_signal -1
	s_barrier_wait -1
	s_and_saveexec_b32 s7, s5
	s_cbranch_execz .LBB46_23
; %bb.20:
	ds_load_b32 v13, v12
	s_mov_b32 s8, exec_lo
	s_wait_dscnt 0x0
	v_cmpx_eq_u32_e64 v17, v13
	s_cbranch_execz .LBB46_22
; %bb.21:
	v_subrev_nc_u32_e32 v13, 32, v8
	ds_load_b32 v13, v13
	s_wait_dscnt 0x0
	v_add_nc_u32_e32 v18, v13, v18
.LBB46_22:
	s_or_b32 exec_lo, exec_lo, s8
.LBB46_23:
	s_delay_alu instid0(SALU_CYCLE_1)
	s_or_b32 exec_lo, exec_lo, s7
	v_cmp_lt_u32_e64 s6, 15, v0
	v_subrev_nc_u32_e32 v13, 64, v1
	s_barrier_signal -1
	s_barrier_wait -1
	ds_store_b32 v8, v18
	s_wait_dscnt 0x0
	s_barrier_signal -1
	s_barrier_wait -1
	s_and_saveexec_b32 s8, s6
	s_cbranch_execz .LBB46_27
; %bb.24:
	ds_load_b32 v14, v13
	s_mov_b32 s9, exec_lo
	s_wait_dscnt 0x0
	v_cmpx_eq_u32_e64 v17, v14
	s_cbranch_execz .LBB46_26
; %bb.25:
	v_subrev_nc_u32_e32 v14, 64, v8
	ds_load_b32 v14, v14
	s_wait_dscnt 0x0
	v_add_nc_u32_e32 v18, v14, v18
.LBB46_26:
	s_or_b32 exec_lo, exec_lo, s9
.LBB46_27:
	s_delay_alu instid0(SALU_CYCLE_1)
	s_or_b32 exec_lo, exec_lo, s8
	v_cmp_lt_u32_e64 s7, 31, v0
	v_add_nc_u32_e32 v14, 0xffffff80, v1
	s_barrier_signal -1
	s_barrier_wait -1
	ds_store_b32 v8, v18
	s_wait_dscnt 0x0
	s_barrier_signal -1
	s_barrier_wait -1
	s_and_saveexec_b32 s9, s7
	s_cbranch_execz .LBB46_31
; %bb.28:
	ds_load_b32 v15, v14
	s_mov_b32 s10, exec_lo
	s_wait_dscnt 0x0
	v_cmpx_eq_u32_e64 v17, v15
	s_cbranch_execz .LBB46_30
; %bb.29:
	v_add_nc_u32_e32 v15, 0xffffff80, v8
	ds_load_b32 v15, v15
	s_wait_dscnt 0x0
	v_add_nc_u32_e32 v18, v15, v18
.LBB46_30:
	s_or_b32 exec_lo, exec_lo, s10
.LBB46_31:
	s_delay_alu instid0(SALU_CYCLE_1)
	s_or_b32 exec_lo, exec_lo, s9
	v_cmp_lt_u32_e64 s8, 63, v0
	v_add_nc_u32_e32 v15, 0xffffff00, v1
	s_barrier_signal -1
	s_barrier_wait -1
	ds_store_b32 v8, v18
	s_wait_dscnt 0x0
	s_barrier_signal -1
	s_barrier_wait -1
	s_and_saveexec_b32 s10, s8
	s_cbranch_execz .LBB46_35
; %bb.32:
	ds_load_b32 v16, v15
	s_mov_b32 s16, exec_lo
	s_wait_dscnt 0x0
	v_cmpx_eq_u32_e64 v17, v16
	s_cbranch_execz .LBB46_34
; %bb.33:
	v_add_nc_u32_e32 v16, 0xffffff00, v8
	ds_load_b32 v16, v16
	s_wait_dscnt 0x0
	v_add_nc_u32_e32 v18, v16, v18
.LBB46_34:
	s_or_b32 exec_lo, exec_lo, s16
.LBB46_35:
	s_delay_alu instid0(SALU_CYCLE_1)
	s_or_b32 exec_lo, exec_lo, s10
	s_load_b64 s[16:17], s[0:1], 0x30
	s_wait_xcnt 0x0
	v_cmp_lt_u32_e64 s0, 0x7f, v0
	v_add_nc_u32_e32 v16, 0xfffffe00, v1
	s_barrier_signal -1
	s_barrier_wait -1
	ds_store_b32 v8, v18
	s_wait_dscnt 0x0
	s_barrier_signal -1
	s_barrier_wait -1
	s_and_saveexec_b32 s9, s0
	s_cbranch_execz .LBB46_39
; %bb.36:
	ds_load_b32 v19, v16
	s_mov_b32 s10, exec_lo
	s_wait_dscnt 0x0
	v_cmpx_eq_u32_e64 v17, v19
	s_cbranch_execz .LBB46_38
; %bb.37:
	v_add_nc_u32_e32 v19, 0xfffffe00, v8
	ds_load_b32 v19, v19
	s_wait_dscnt 0x0
	v_add_nc_u32_e32 v18, v19, v18
.LBB46_38:
	s_or_b32 exec_lo, exec_lo, s10
.LBB46_39:
	s_delay_alu instid0(SALU_CYCLE_1)
	s_or_b32 exec_lo, exec_lo, s9
	v_cmp_gt_u32_e64 s1, 0xff, v0
	s_barrier_signal -1
	s_barrier_wait -1
	ds_store_b32 v8, v18
	s_wait_dscnt 0x0
	s_barrier_signal -1
	s_barrier_wait -1
	s_and_saveexec_b32 s22, s1
	s_cbranch_execz .LBB46_42
; %bb.40:
	ds_load_b32 v19, v1 offset:4
	v_cmp_lt_i32_e64 s10, -1, v17
	s_wait_dscnt 0x0
	v_cmp_ne_u32_e64 s9, v17, v19
	s_and_b32 s9, s10, s9
	s_delay_alu instid0(SALU_CYCLE_1)
	s_and_b32 exec_lo, exec_lo, s9
	s_cbranch_execz .LBB46_42
; %bb.41:
	v_mul_lo_u32 v18, v18, s11
	s_wait_kmcnt 0x0
	global_atomic_add_u32 v17, v18, s[16:17] scale_offset scope:SCOPE_DEV
.LBB46_42:
	s_wait_xcnt 0x0
	s_or_b32 exec_lo, exec_lo, s22
	v_add_nc_u64_e32 v[6:7], 0x100, v[6:7]
	s_delay_alu instid0(VALU_DEP_1)
	v_cmp_gt_i64_e64 s9, s[20:21], v[6:7]
	v_dual_mov_b32 v6, -1 :: v_dual_mov_b32 v7, 0
	s_and_saveexec_b32 s10, s9
	s_cbranch_execz .LBB46_44
; %bb.43:
	v_add_nc_u64_e32 v[6:7], s[14:15], v[4:5]
	v_add_nc_u64_e32 v[4:5], s[12:13], v[4:5]
	global_load_b32 v6, v[6:7], off offset:1024 th:TH_LOAD_NT
	s_wait_loadcnt 0x0
	v_subrev_nc_u32_e32 v6, s24, v6
	global_load_b32 v7, v[4:5], off offset:1024 th:TH_LOAD_NT
	global_load_i8 v17, v[2:3], off offset:256 th:TH_LOAD_NT
	global_load_i8 v18, v6, s[18:19]
	s_wait_loadcnt 0x2
	s_wait_xcnt 0x0
	v_subrev_nc_u32_e32 v6, s24, v7
	s_wait_loadcnt 0x0
	v_mul_i32_i24_e32 v7, v18, v17
.LBB46_44:
	s_or_b32 exec_lo, exec_lo, s10
	s_and_saveexec_b32 s9, vcc_lo
	s_cbranch_execz .LBB46_53
; %bb.45:
	v_mov_b32_e32 v2, 0
	s_mov_b32 s10, exec_lo
	ds_load_b32 v2, v2 offset:1020
	s_wait_dscnt 0x0
	v_cmpx_ne_u32_e64 v6, v2
	s_xor_b32 s10, exec_lo, s10
	s_cbranch_execz .LBB46_50
; %bb.46:
	v_cmp_gt_i32_e32 vcc_lo, 0, v2
	s_cbranch_vccnz .LBB46_50
; %bb.47:
	s_mov_b32 s13, exec_lo
	s_mov_b32 s12, exec_lo
	v_mbcnt_lo_u32_b32 v3, s13, 0
	s_delay_alu instid0(VALU_DEP_1)
	v_cmpx_eq_u32_e32 0, v3
	s_cbranch_execz .LBB46_49
; %bb.48:
	v_mov_b32_e32 v3, 0
	s_bcnt1_i32_b32 s13, s13
	ds_load_b32 v3, v3 offset:2044
	s_wait_dscnt 0x0
	v_mul_lo_u32 v3, v3, s11
	s_delay_alu instid0(VALU_DEP_1)
	v_mul_lo_u32 v3, v3, s13
	s_wait_kmcnt 0x0
	global_atomic_add_u32 v2, v3, s[16:17] scale_offset scope:SCOPE_DEV
.LBB46_49:
	s_wait_xcnt 0x0
	s_or_b32 exec_lo, exec_lo, s12
.LBB46_50:
	s_and_not1_saveexec_b32 s10, s10
	s_cbranch_execz .LBB46_52
; %bb.51:
	v_mov_b32_e32 v2, 0
	ds_load_b32 v2, v2 offset:2044
	s_wait_dscnt 0x0
	v_add_nc_u32_e32 v7, v2, v7
.LBB46_52:
	s_or_b32 exec_lo, exec_lo, s10
.LBB46_53:
	s_delay_alu instid0(SALU_CYCLE_1)
	s_or_b32 exec_lo, exec_lo, s9
	s_wait_storecnt 0x0
	s_barrier_signal -1
	s_barrier_wait -1
	ds_store_b32 v1, v6
	ds_store_b32 v8, v7
	s_wait_dscnt 0x0
	s_barrier_signal -1
	s_barrier_wait -1
	s_and_saveexec_b32 s9, s2
	s_cbranch_execz .LBB46_57
; %bb.54:
	ds_load_b32 v2, v9
	s_mov_b32 s2, exec_lo
	s_wait_dscnt 0x0
	v_cmpx_eq_u32_e64 v6, v2
	s_cbranch_execz .LBB46_56
; %bb.55:
	v_add_nc_u32_e32 v2, -4, v8
	ds_load_b32 v2, v2
	s_wait_dscnt 0x0
	v_add_nc_u32_e32 v7, v2, v7
.LBB46_56:
	s_or_b32 exec_lo, exec_lo, s2
.LBB46_57:
	s_delay_alu instid0(SALU_CYCLE_1)
	s_or_b32 exec_lo, exec_lo, s9
	s_barrier_signal -1
	s_barrier_wait -1
	ds_store_b32 v8, v7
	s_wait_dscnt 0x0
	s_barrier_signal -1
	s_barrier_wait -1
	s_and_saveexec_b32 s2, s3
	s_cbranch_execz .LBB46_61
; %bb.58:
	ds_load_b32 v2, v10
	s_mov_b32 s3, exec_lo
	s_wait_dscnt 0x0
	v_cmpx_eq_u32_e64 v6, v2
	s_cbranch_execz .LBB46_60
; %bb.59:
	v_add_nc_u32_e32 v2, -8, v8
	ds_load_b32 v2, v2
	s_wait_dscnt 0x0
	v_add_nc_u32_e32 v7, v2, v7
.LBB46_60:
	s_or_b32 exec_lo, exec_lo, s3
.LBB46_61:
	s_delay_alu instid0(SALU_CYCLE_1)
	s_or_b32 exec_lo, exec_lo, s2
	s_barrier_signal -1
	s_barrier_wait -1
	;; [unrolled: 24-line block ×3, first 2 shown]
	ds_store_b32 v8, v7
	s_wait_dscnt 0x0
	s_barrier_signal -1
	s_barrier_wait -1
	s_and_saveexec_b32 s2, s5
	s_cbranch_execz .LBB46_69
; %bb.66:
	ds_load_b32 v2, v12
	s_mov_b32 s3, exec_lo
	s_wait_dscnt 0x0
	v_cmpx_eq_u32_e64 v6, v2
	s_cbranch_execz .LBB46_68
; %bb.67:
	v_subrev_nc_u32_e32 v2, 32, v8
	ds_load_b32 v2, v2
	s_wait_dscnt 0x0
	v_add_nc_u32_e32 v7, v2, v7
.LBB46_68:
	s_or_b32 exec_lo, exec_lo, s3
.LBB46_69:
	s_delay_alu instid0(SALU_CYCLE_1)
	s_or_b32 exec_lo, exec_lo, s2
	s_barrier_signal -1
	s_barrier_wait -1
	ds_store_b32 v8, v7
	s_wait_dscnt 0x0
	s_barrier_signal -1
	s_barrier_wait -1
	s_and_saveexec_b32 s2, s6
	s_cbranch_execz .LBB46_73
; %bb.70:
	ds_load_b32 v2, v13
	s_mov_b32 s3, exec_lo
	s_wait_dscnt 0x0
	v_cmpx_eq_u32_e64 v6, v2
	s_cbranch_execz .LBB46_72
; %bb.71:
	v_subrev_nc_u32_e32 v2, 64, v8
	ds_load_b32 v2, v2
	s_wait_dscnt 0x0
	v_add_nc_u32_e32 v7, v2, v7
.LBB46_72:
	s_or_b32 exec_lo, exec_lo, s3
.LBB46_73:
	s_delay_alu instid0(SALU_CYCLE_1)
	s_or_b32 exec_lo, exec_lo, s2
	s_barrier_signal -1
	s_barrier_wait -1
	ds_store_b32 v8, v7
	s_wait_dscnt 0x0
	s_barrier_signal -1
	s_barrier_wait -1
	s_and_saveexec_b32 s2, s7
	s_cbranch_execz .LBB46_77
; %bb.74:
	ds_load_b32 v2, v14
	s_mov_b32 s3, exec_lo
	s_wait_dscnt 0x0
	v_cmpx_eq_u32_e64 v6, v2
	s_cbranch_execz .LBB46_76
; %bb.75:
	v_add_nc_u32_e32 v2, 0xffffff80, v8
	ds_load_b32 v2, v2
	s_wait_dscnt 0x0
	v_add_nc_u32_e32 v7, v2, v7
.LBB46_76:
	s_or_b32 exec_lo, exec_lo, s3
.LBB46_77:
	s_delay_alu instid0(SALU_CYCLE_1)
	s_or_b32 exec_lo, exec_lo, s2
	s_barrier_signal -1
	s_barrier_wait -1
	ds_store_b32 v8, v7
	s_wait_dscnt 0x0
	s_barrier_signal -1
	s_barrier_wait -1
	s_and_saveexec_b32 s2, s8
	s_cbranch_execz .LBB46_81
; %bb.78:
	ds_load_b32 v2, v15
	s_mov_b32 s3, exec_lo
	s_wait_dscnt 0x0
	v_cmpx_eq_u32_e64 v6, v2
	s_cbranch_execz .LBB46_80
; %bb.79:
	v_add_nc_u32_e32 v2, 0xffffff00, v8
	ds_load_b32 v2, v2
	s_wait_dscnt 0x0
	v_add_nc_u32_e32 v7, v2, v7
.LBB46_80:
	s_or_b32 exec_lo, exec_lo, s3
.LBB46_81:
	;; [unrolled: 24-line block ×3, first 2 shown]
	s_delay_alu instid0(SALU_CYCLE_1)
	s_or_b32 exec_lo, exec_lo, s2
	s_barrier_signal -1
	s_barrier_wait -1
	ds_store_b32 v8, v7
	s_wait_dscnt 0x0
	s_barrier_signal -1
	s_barrier_wait -1
	s_and_saveexec_b32 s2, s1
	s_cbranch_execz .LBB46_88
; %bb.86:
	ds_load_b32 v1, v1 offset:4
	v_cmp_lt_i32_e64 s0, -1, v6
	s_wait_dscnt 0x0
	v_cmp_ne_u32_e32 vcc_lo, v6, v1
	s_and_b32 s0, s0, vcc_lo
	s_delay_alu instid0(SALU_CYCLE_1)
	s_and_b32 exec_lo, exec_lo, s0
	s_cbranch_execz .LBB46_88
; %bb.87:
	v_mul_lo_u32 v1, v7, s11
	s_wait_kmcnt 0x0
	global_atomic_add_u32 v6, v1, s[16:17] scale_offset scope:SCOPE_DEV
.LBB46_88:
	s_wait_xcnt 0x0
	s_or_b32 exec_lo, exec_lo, s2
	v_cmp_eq_u32_e32 vcc_lo, 0xff, v0
	v_cmp_lt_i32_e64 s0, -1, v6
	s_and_b32 s0, vcc_lo, s0
	s_delay_alu instid0(SALU_CYCLE_1)
	s_and_saveexec_b32 s1, s0
	s_cbranch_execz .LBB46_90
; %bb.89:
	v_mul_lo_u32 v0, v7, s11
	s_wait_kmcnt 0x0
	global_atomic_add_u32 v6, v0, s[16:17] scale_offset scope:SCOPE_DEV
.LBB46_90:
	s_endpgm
	.section	.rodata,"a",@progbits
	.p2align	6, 0x0
	.amdhsa_kernel _ZN9rocsparseL19coomvn_atomic_loopsILj256ELj2EiaaiiEEvlNS_24const_host_device_scalarIT5_EEPKT1_S6_PKT2_PKT3_PT4_21rocsparse_index_base_b
		.amdhsa_group_segment_fixed_size 2048
		.amdhsa_private_segment_fixed_size 0
		.amdhsa_kernarg_size 64
		.amdhsa_user_sgpr_count 2
		.amdhsa_user_sgpr_dispatch_ptr 0
		.amdhsa_user_sgpr_queue_ptr 0
		.amdhsa_user_sgpr_kernarg_segment_ptr 1
		.amdhsa_user_sgpr_dispatch_id 0
		.amdhsa_user_sgpr_kernarg_preload_length 0
		.amdhsa_user_sgpr_kernarg_preload_offset 0
		.amdhsa_user_sgpr_private_segment_size 0
		.amdhsa_wavefront_size32 1
		.amdhsa_uses_dynamic_stack 0
		.amdhsa_enable_private_segment 0
		.amdhsa_system_sgpr_workgroup_id_x 1
		.amdhsa_system_sgpr_workgroup_id_y 0
		.amdhsa_system_sgpr_workgroup_id_z 0
		.amdhsa_system_sgpr_workgroup_info 0
		.amdhsa_system_vgpr_workitem_id 0
		.amdhsa_next_free_vgpr 20
		.amdhsa_next_free_sgpr 26
		.amdhsa_named_barrier_count 0
		.amdhsa_reserve_vcc 1
		.amdhsa_float_round_mode_32 0
		.amdhsa_float_round_mode_16_64 0
		.amdhsa_float_denorm_mode_32 3
		.amdhsa_float_denorm_mode_16_64 3
		.amdhsa_fp16_overflow 0
		.amdhsa_memory_ordered 1
		.amdhsa_forward_progress 1
		.amdhsa_inst_pref_size 21
		.amdhsa_round_robin_scheduling 0
		.amdhsa_exception_fp_ieee_invalid_op 0
		.amdhsa_exception_fp_denorm_src 0
		.amdhsa_exception_fp_ieee_div_zero 0
		.amdhsa_exception_fp_ieee_overflow 0
		.amdhsa_exception_fp_ieee_underflow 0
		.amdhsa_exception_fp_ieee_inexact 0
		.amdhsa_exception_int_div_zero 0
	.end_amdhsa_kernel
	.section	.text._ZN9rocsparseL19coomvn_atomic_loopsILj256ELj2EiaaiiEEvlNS_24const_host_device_scalarIT5_EEPKT1_S6_PKT2_PKT3_PT4_21rocsparse_index_base_b,"axG",@progbits,_ZN9rocsparseL19coomvn_atomic_loopsILj256ELj2EiaaiiEEvlNS_24const_host_device_scalarIT5_EEPKT1_S6_PKT2_PKT3_PT4_21rocsparse_index_base_b,comdat
.Lfunc_end46:
	.size	_ZN9rocsparseL19coomvn_atomic_loopsILj256ELj2EiaaiiEEvlNS_24const_host_device_scalarIT5_EEPKT1_S6_PKT2_PKT3_PT4_21rocsparse_index_base_b, .Lfunc_end46-_ZN9rocsparseL19coomvn_atomic_loopsILj256ELj2EiaaiiEEvlNS_24const_host_device_scalarIT5_EEPKT1_S6_PKT2_PKT3_PT4_21rocsparse_index_base_b
                                        ; -- End function
	.set _ZN9rocsparseL19coomvn_atomic_loopsILj256ELj2EiaaiiEEvlNS_24const_host_device_scalarIT5_EEPKT1_S6_PKT2_PKT3_PT4_21rocsparse_index_base_b.num_vgpr, 20
	.set _ZN9rocsparseL19coomvn_atomic_loopsILj256ELj2EiaaiiEEvlNS_24const_host_device_scalarIT5_EEPKT1_S6_PKT2_PKT3_PT4_21rocsparse_index_base_b.num_agpr, 0
	.set _ZN9rocsparseL19coomvn_atomic_loopsILj256ELj2EiaaiiEEvlNS_24const_host_device_scalarIT5_EEPKT1_S6_PKT2_PKT3_PT4_21rocsparse_index_base_b.numbered_sgpr, 26
	.set _ZN9rocsparseL19coomvn_atomic_loopsILj256ELj2EiaaiiEEvlNS_24const_host_device_scalarIT5_EEPKT1_S6_PKT2_PKT3_PT4_21rocsparse_index_base_b.num_named_barrier, 0
	.set _ZN9rocsparseL19coomvn_atomic_loopsILj256ELj2EiaaiiEEvlNS_24const_host_device_scalarIT5_EEPKT1_S6_PKT2_PKT3_PT4_21rocsparse_index_base_b.private_seg_size, 0
	.set _ZN9rocsparseL19coomvn_atomic_loopsILj256ELj2EiaaiiEEvlNS_24const_host_device_scalarIT5_EEPKT1_S6_PKT2_PKT3_PT4_21rocsparse_index_base_b.uses_vcc, 1
	.set _ZN9rocsparseL19coomvn_atomic_loopsILj256ELj2EiaaiiEEvlNS_24const_host_device_scalarIT5_EEPKT1_S6_PKT2_PKT3_PT4_21rocsparse_index_base_b.uses_flat_scratch, 0
	.set _ZN9rocsparseL19coomvn_atomic_loopsILj256ELj2EiaaiiEEvlNS_24const_host_device_scalarIT5_EEPKT1_S6_PKT2_PKT3_PT4_21rocsparse_index_base_b.has_dyn_sized_stack, 0
	.set _ZN9rocsparseL19coomvn_atomic_loopsILj256ELj2EiaaiiEEvlNS_24const_host_device_scalarIT5_EEPKT1_S6_PKT2_PKT3_PT4_21rocsparse_index_base_b.has_recursion, 0
	.set _ZN9rocsparseL19coomvn_atomic_loopsILj256ELj2EiaaiiEEvlNS_24const_host_device_scalarIT5_EEPKT1_S6_PKT2_PKT3_PT4_21rocsparse_index_base_b.has_indirect_call, 0
	.section	.AMDGPU.csdata,"",@progbits
; Kernel info:
; codeLenInByte = 2576
; TotalNumSgprs: 28
; NumVgprs: 20
; ScratchSize: 0
; MemoryBound: 0
; FloatMode: 240
; IeeeMode: 1
; LDSByteSize: 2048 bytes/workgroup (compile time only)
; SGPRBlocks: 0
; VGPRBlocks: 1
; NumSGPRsForWavesPerEU: 28
; NumVGPRsForWavesPerEU: 20
; NamedBarCnt: 0
; Occupancy: 16
; WaveLimiterHint : 1
; COMPUTE_PGM_RSRC2:SCRATCH_EN: 0
; COMPUTE_PGM_RSRC2:USER_SGPR: 2
; COMPUTE_PGM_RSRC2:TRAP_HANDLER: 0
; COMPUTE_PGM_RSRC2:TGID_X_EN: 1
; COMPUTE_PGM_RSRC2:TGID_Y_EN: 0
; COMPUTE_PGM_RSRC2:TGID_Z_EN: 0
; COMPUTE_PGM_RSRC2:TIDIG_COMP_CNT: 0
	.section	.text._ZN9rocsparseL22coomvn_segmented_loopsILj256ElaaiiEEvlT0_NS_24const_host_device_scalarIT4_EEPKS1_S6_PKT1_PKT2_PT3_PS1_PS3_21rocsparse_index_base_b,"axG",@progbits,_ZN9rocsparseL22coomvn_segmented_loopsILj256ElaaiiEEvlT0_NS_24const_host_device_scalarIT4_EEPKS1_S6_PKT1_PKT2_PT3_PS1_PS3_21rocsparse_index_base_b,comdat
	.globl	_ZN9rocsparseL22coomvn_segmented_loopsILj256ElaaiiEEvlT0_NS_24const_host_device_scalarIT4_EEPKS1_S6_PKT1_PKT2_PT3_PS1_PS3_21rocsparse_index_base_b ; -- Begin function _ZN9rocsparseL22coomvn_segmented_loopsILj256ElaaiiEEvlT0_NS_24const_host_device_scalarIT4_EEPKS1_S6_PKT1_PKT2_PT3_PS1_PS3_21rocsparse_index_base_b
	.p2align	8
	.type	_ZN9rocsparseL22coomvn_segmented_loopsILj256ElaaiiEEvlT0_NS_24const_host_device_scalarIT4_EEPKS1_S6_PKT1_PKT2_PT3_PS1_PS3_21rocsparse_index_base_b,@function
_ZN9rocsparseL22coomvn_segmented_loopsILj256ElaaiiEEvlT0_NS_24const_host_device_scalarIT4_EEPKS1_S6_PKT1_PKT2_PT3_PS1_PS3_21rocsparse_index_base_b: ; @_ZN9rocsparseL22coomvn_segmented_loopsILj256ElaaiiEEvlT0_NS_24const_host_device_scalarIT4_EEPKS1_S6_PKT1_PKT2_PT3_PS1_PS3_21rocsparse_index_base_b
; %bb.0:
	s_clause 0x1
	s_load_b64 s[14:15], s[0:1], 0x50
	s_load_b64 s[2:3], s[0:1], 0x10
	s_mov_b32 s4, 0
	s_wait_kmcnt 0x0
	s_bitcmp0_b32 s15, 0
	s_cbranch_scc0 .LBB47_2
; %bb.1:
	s_load_b32 s13, s[2:3], 0x0
	s_and_not1_b32 vcc_lo, exec_lo, s4
	s_cbranch_vccz .LBB47_3
	s_branch .LBB47_4
.LBB47_2:
                                        ; implicit-def: $sgpr13
.LBB47_3:
	s_wait_kmcnt 0x0
	s_mov_b32 s13, s2
.LBB47_4:
	s_wait_kmcnt 0x0
	s_cmp_eq_u32 s13, 0
	s_mov_b32 s29, 0
	s_cbranch_scc1 .LBB47_91
; %bb.5:
	s_load_b128 s[24:27], s[0:1], 0x0
	s_bfe_u32 s2, ttmp6, 0x4000c
	s_load_b256 s[16:23], s[0:1], 0x18
	s_add_co_i32 s2, s2, 1
	s_and_b32 s3, ttmp6, 15
	s_mul_i32 s2, ttmp9, s2
	s_getreg_b32 s4, hwreg(HW_REG_IB_STS2, 6, 4)
	s_add_co_i32 s3, s3, s2
	s_cmp_eq_u32 s4, 0
	v_mov_b64_e32 v[2:3], -1
	s_cselect_b32 s28, ttmp9, s3
	v_mov_b32_e32 v14, 0
	s_wait_kmcnt 0x0
	s_mul_u64 s[34:35], s[28:29], s[26:27]
	s_delay_alu instid0(SALU_CYCLE_1) | instskip(NEXT) | instid1(SALU_CYCLE_1)
	s_lshl_b64 s[2:3], s[34:35], 8
	v_dual_mov_b32 v5, s3 :: v_dual_bitop2_b32 v4, s2, v0 bitop3:0x54
	s_mov_b32 s2, exec_lo
	s_delay_alu instid0(VALU_DEP_1)
	v_cmpx_gt_i64_e64 s[24:25], v[4:5]
	s_cbranch_execz .LBB47_7
; %bb.6:
	v_lshlrev_b64_e32 v[2:3], 3, v[4:5]
	s_mov_b32 s15, 0
	s_delay_alu instid0(VALU_DEP_1)
	v_add_nc_u64_e32 v[6:7], s[18:19], v[2:3]
	v_add_nc_u64_e32 v[2:3], s[16:17], v[2:3]
	global_load_b64 v[8:9], v[6:7], off th:TH_LOAD_NT
	global_load_b64 v[10:11], v[2:3], off th:TH_LOAD_NT
	s_wait_loadcnt 0x1
	s_wait_xcnt 0x1
	v_add_nc_u64_e32 v[6:7], s[22:23], v[8:9]
	s_wait_loadcnt 0x0
	v_sub_nc_u64_e64 v[2:3], v[10:11], s[14:15]
	s_ashr_i32 s15, s14, 31
	v_add_nc_u64_e32 v[8:9], s[20:21], v[4:5]
	s_sub_nc_u64 s[4:5], 0, s[14:15]
	s_delay_alu instid0(VALU_DEP_3) | instid1(SALU_CYCLE_1)
	v_add_nc_u64_e32 v[6:7], s[4:5], v[6:7]
	global_load_i8 v1, v[8:9], off th:TH_LOAD_NT
	global_load_i8 v10, v[6:7], off
	s_wait_loadcnt 0x0
	v_mul_i32_i24_e32 v14, v10, v1
.LBB47_7:
	s_or_b32 exec_lo, exec_lo, s2
	v_dual_lshlrev_b32 v6, 2, v0 :: v_dual_lshlrev_b32 v1, 3, v0
	v_cmp_eq_u32_e64 s2, 0, v0
	v_cmp_ne_u32_e64 s3, 0, v0
	ds_store_b64 v1, v[2:3]
	ds_store_b32 v6, v14 offset:2048
	v_or_b32_e32 v12, 0x800, v6
	v_add_nc_u32_e32 v13, -8, v1
	s_wait_dscnt 0x0
	s_barrier_signal -1
	s_barrier_wait -1
	s_and_saveexec_b32 s4, s3
	s_cbranch_execz .LBB47_11
; %bb.8:
	ds_load_b64 v[6:7], v13
	s_mov_b32 s5, exec_lo
	s_wait_dscnt 0x0
	v_cmpx_eq_u64_e64 v[2:3], v[6:7]
	s_cbranch_execz .LBB47_10
; %bb.9:
	v_add_nc_u32_e32 v6, -4, v12
	ds_load_b32 v6, v6
	s_wait_dscnt 0x0
	v_add_nc_u32_e32 v14, v6, v14
.LBB47_10:
	s_or_b32 exec_lo, exec_lo, s5
.LBB47_11:
	s_delay_alu instid0(SALU_CYCLE_1)
	s_or_b32 exec_lo, exec_lo, s4
	v_cmp_lt_u32_e64 s4, 1, v0
	v_add_nc_u32_e32 v15, -16, v1
	s_barrier_signal -1
	s_barrier_wait -1
	ds_store_b32 v12, v14
	s_wait_dscnt 0x0
	s_barrier_signal -1
	s_barrier_wait -1
	s_and_saveexec_b32 s5, s4
	s_cbranch_execz .LBB47_15
; %bb.12:
	ds_load_b64 v[6:7], v15
	s_mov_b32 s6, exec_lo
	s_wait_dscnt 0x0
	v_cmpx_eq_u64_e64 v[2:3], v[6:7]
	s_cbranch_execz .LBB47_14
; %bb.13:
	v_add_nc_u32_e32 v6, -8, v12
	ds_load_b32 v6, v6
	s_wait_dscnt 0x0
	v_add_nc_u32_e32 v14, v6, v14
.LBB47_14:
	s_or_b32 exec_lo, exec_lo, s6
.LBB47_15:
	s_delay_alu instid0(SALU_CYCLE_1)
	s_or_b32 exec_lo, exec_lo, s5
	v_cmp_lt_u32_e64 s5, 3, v0
	v_subrev_nc_u32_e32 v16, 32, v1
	s_barrier_signal -1
	s_barrier_wait -1
	ds_store_b32 v12, v14
	s_wait_dscnt 0x0
	s_barrier_signal -1
	s_barrier_wait -1
	s_and_saveexec_b32 s6, s5
	s_cbranch_execz .LBB47_19
; %bb.16:
	ds_load_b64 v[6:7], v16
	s_mov_b32 s7, exec_lo
	s_wait_dscnt 0x0
	v_cmpx_eq_u64_e64 v[2:3], v[6:7]
	s_cbranch_execz .LBB47_18
; %bb.17:
	v_add_nc_u32_e32 v6, -16, v12
	ds_load_b32 v6, v6
	s_wait_dscnt 0x0
	v_add_nc_u32_e32 v14, v6, v14
.LBB47_18:
	s_or_b32 exec_lo, exec_lo, s7
.LBB47_19:
	s_delay_alu instid0(SALU_CYCLE_1)
	s_or_b32 exec_lo, exec_lo, s6
	v_cmp_lt_u32_e64 s6, 7, v0
	v_subrev_nc_u32_e32 v17, 64, v1
	s_barrier_signal -1
	s_barrier_wait -1
	ds_store_b32 v12, v14
	s_wait_dscnt 0x0
	s_barrier_signal -1
	s_barrier_wait -1
	s_and_saveexec_b32 s7, s6
	s_cbranch_execz .LBB47_23
; %bb.20:
	ds_load_b64 v[6:7], v17
	s_mov_b32 s8, exec_lo
	s_wait_dscnt 0x0
	v_cmpx_eq_u64_e64 v[2:3], v[6:7]
	s_cbranch_execz .LBB47_22
; %bb.21:
	v_subrev_nc_u32_e32 v6, 32, v12
	ds_load_b32 v6, v6
	s_wait_dscnt 0x0
	v_add_nc_u32_e32 v14, v6, v14
.LBB47_22:
	s_or_b32 exec_lo, exec_lo, s8
.LBB47_23:
	s_delay_alu instid0(SALU_CYCLE_1)
	s_or_b32 exec_lo, exec_lo, s7
	v_cmp_lt_u32_e64 s7, 15, v0
	v_add_nc_u32_e32 v18, 0xffffff80, v1
	s_barrier_signal -1
	s_barrier_wait -1
	ds_store_b32 v12, v14
	s_wait_dscnt 0x0
	s_barrier_signal -1
	s_barrier_wait -1
	s_and_saveexec_b32 s8, s7
	s_cbranch_execz .LBB47_27
; %bb.24:
	ds_load_b64 v[6:7], v18
	s_mov_b32 s9, exec_lo
	s_wait_dscnt 0x0
	v_cmpx_eq_u64_e64 v[2:3], v[6:7]
	s_cbranch_execz .LBB47_26
; %bb.25:
	v_subrev_nc_u32_e32 v6, 64, v12
	ds_load_b32 v6, v6
	s_wait_dscnt 0x0
	v_add_nc_u32_e32 v14, v6, v14
.LBB47_26:
	s_or_b32 exec_lo, exec_lo, s9
.LBB47_27:
	s_delay_alu instid0(SALU_CYCLE_1)
	s_or_b32 exec_lo, exec_lo, s8
	v_cmp_lt_u32_e64 s8, 31, v0
	v_add_nc_u32_e32 v19, 0xffffff00, v1
	s_barrier_signal -1
	s_barrier_wait -1
	ds_store_b32 v12, v14
	s_wait_dscnt 0x0
	s_barrier_signal -1
	s_barrier_wait -1
	s_and_saveexec_b32 s9, s8
	s_cbranch_execz .LBB47_31
; %bb.28:
	ds_load_b64 v[6:7], v19
	s_mov_b32 s10, exec_lo
	s_wait_dscnt 0x0
	v_cmpx_eq_u64_e64 v[2:3], v[6:7]
	s_cbranch_execz .LBB47_30
; %bb.29:
	v_add_nc_u32_e32 v6, 0xffffff80, v12
	ds_load_b32 v6, v6
	s_wait_dscnt 0x0
	v_add_nc_u32_e32 v14, v6, v14
.LBB47_30:
	s_or_b32 exec_lo, exec_lo, s10
.LBB47_31:
	s_delay_alu instid0(SALU_CYCLE_1)
	s_or_b32 exec_lo, exec_lo, s9
	v_cmp_lt_u32_e64 s9, 63, v0
	v_add_nc_u32_e32 v20, 0xfffffe00, v1
	s_barrier_signal -1
	s_barrier_wait -1
	ds_store_b32 v12, v14
	s_wait_dscnt 0x0
	s_barrier_signal -1
	s_barrier_wait -1
	s_and_saveexec_b32 s10, s9
	s_cbranch_execz .LBB47_35
; %bb.32:
	ds_load_b64 v[6:7], v20
	s_mov_b32 s11, exec_lo
	s_wait_dscnt 0x0
	v_cmpx_eq_u64_e64 v[2:3], v[6:7]
	s_cbranch_execz .LBB47_34
; %bb.33:
	v_add_nc_u32_e32 v6, 0xffffff00, v12
	ds_load_b32 v6, v6
	s_wait_dscnt 0x0
	v_add_nc_u32_e32 v14, v6, v14
.LBB47_34:
	s_or_b32 exec_lo, exec_lo, s11
.LBB47_35:
	;; [unrolled: 26-line block ×3, first 2 shown]
	s_delay_alu instid0(SALU_CYCLE_1)
	s_or_b32 exec_lo, exec_lo, s11
	s_load_b64 s[30:31], s[0:1], 0x38
	v_cmp_gt_u32_e64 s11, 0xff, v0
	s_barrier_signal -1
	s_barrier_wait -1
	ds_store_b32 v12, v14
	s_wait_dscnt 0x0
	s_barrier_signal -1
	s_barrier_wait -1
	s_and_saveexec_b32 s15, s11
	s_cbranch_execz .LBB47_42
; %bb.40:
	ds_load_b64 v[6:7], v1 offset:8
	v_cmp_lt_i64_e64 s12, -1, v[2:3]
	s_wait_dscnt 0x0
	v_cmp_ne_u64_e32 vcc_lo, v[2:3], v[6:7]
	s_and_b32 s12, s12, vcc_lo
	s_delay_alu instid0(SALU_CYCLE_1)
	s_and_b32 exec_lo, exec_lo, s12
	s_cbranch_execz .LBB47_42
; %bb.41:
	s_wait_kmcnt 0x0
	v_lshl_add_u64 v[6:7], v[2:3], 2, s[30:31]
	global_load_b32 v8, v[6:7], off
	s_wait_loadcnt 0x0
	v_mad_u32 v8, v14, s13, v8
	global_store_b32 v[6:7], v8, off
.LBB47_42:
	s_wait_xcnt 0x0
	s_or_b32 exec_lo, exec_lo, s15
	v_cmp_lt_i64_e64 s12, s[26:27], 2
	s_and_b32 vcc_lo, exec_lo, s12
	s_cbranch_vccnz .LBB47_89
; %bb.43:
	s_lshl_b64 s[34:35], s[34:35], 11
	v_add_nc_u64_e32 v[4:5], 0x100, v[4:5]
	v_lshl_or_b32 v2, v0, 3, s34
	v_dual_mov_b32 v3, s35 :: v_dual_add_nc_u32 v22, -4, v12
	s_ashr_i32 s35, s14, 31
	s_mov_b32 s34, s14
	v_dual_add_nc_u32 v23, -8, v12 :: v_dual_add_nc_u32 v24, -16, v12
	s_delay_alu instid0(VALU_DEP_2)
	v_add_nc_u64_e32 v[2:3], 0x800, v[2:3]
	v_subrev_nc_u32_e32 v25, 32, v12
	v_subrev_nc_u32_e32 v26, 64, v12
	v_dual_mov_b32 v30, 0 :: v_dual_add_nc_u32 v27, 0xffffff80, v12
	v_add_nc_u32_e32 v28, 0xffffff00, v12
	v_add_nc_u32_e32 v29, 0xfffffe00, v12
	v_add_nc_u64_e32 v[6:7], s[18:19], v[2:3]
	v_add_nc_u64_e32 v[8:9], s[16:17], v[2:3]
	s_sub_nc_u64 s[18:19], 0, s[34:35]
	s_add_nc_u64 s[26:27], s[26:27], -1
	s_mov_b32 s15, 0
	s_mov_b64 s[16:17], 0
	s_add_nc_u64 s[18:19], s[22:23], s[18:19]
	s_branch .LBB47_45
.LBB47_44:                              ;   in Loop: Header=BB47_45 Depth=1
	s_wait_xcnt 0x0
	s_or_b32 exec_lo, exec_lo, s22
	s_add_nc_u64 s[16:17], s[16:17], 1
	v_add_nc_u64_e32 v[6:7], 0x800, v[6:7]
	v_cmp_le_u64_e64 s12, s[26:27], s[16:17]
	v_add_nc_u64_e32 v[4:5], 0x100, v[4:5]
	v_add_nc_u64_e32 v[8:9], 0x800, v[8:9]
	s_and_b32 vcc_lo, exec_lo, s12
	s_cbranch_vccnz .LBB47_89
.LBB47_45:                              ; =>This Inner Loop Header: Depth=1
	v_mov_b64_e32 v[2:3], -1
	v_mov_b32_e32 v14, 0
	s_mov_b32 s12, exec_lo
	v_cmpx_gt_i64_e64 s[24:25], v[4:5]
	s_cbranch_execz .LBB47_47
; %bb.46:                               ;   in Loop: Header=BB47_45 Depth=1
	global_load_b64 v[2:3], v[6:7], off th:TH_LOAD_NT
	v_add_nc_u64_e32 v[10:11], s[20:21], v[4:5]
	s_wait_loadcnt 0x0
	v_add_nc_u64_e32 v[2:3], s[18:19], v[2:3]
	global_load_b64 v[32:33], v[8:9], off th:TH_LOAD_NT
	global_load_i8 v14, v[10:11], off th:TH_LOAD_NT
	global_load_i8 v31, v[2:3], off
	s_wait_loadcnt 0x2
	s_wait_xcnt 0x0
	v_sub_nc_u64_e64 v[2:3], v[32:33], s[14:15]
	s_wait_loadcnt 0x0
	v_mul_i32_i24_e32 v14, v31, v14
.LBB47_47:                              ;   in Loop: Header=BB47_45 Depth=1
	s_or_b32 exec_lo, exec_lo, s12
	s_and_saveexec_b32 s12, s2
	s_cbranch_execz .LBB47_54
; %bb.48:                               ;   in Loop: Header=BB47_45 Depth=1
	ds_load_b64 v[10:11], v30 offset:2040
	s_mov_b32 s22, exec_lo
	s_wait_dscnt 0x0
	v_cmpx_ne_u64_e64 v[2:3], v[10:11]
	s_xor_b32 s22, exec_lo, s22
	s_cbranch_execz .LBB47_51
; %bb.49:                               ;   in Loop: Header=BB47_45 Depth=1
	v_cmp_gt_i64_e32 vcc_lo, 0, v[10:11]
	s_cbranch_vccnz .LBB47_51
; %bb.50:                               ;   in Loop: Header=BB47_45 Depth=1
	v_lshlrev_b64_e32 v[10:11], 2, v[10:11]
	ds_load_b32 v32, v30 offset:3068
	s_wait_kmcnt 0x0
	v_add_nc_u64_e32 v[10:11], s[30:31], v[10:11]
	global_load_b32 v31, v[10:11], off
	s_wait_dscnt 0x0
	v_mul_lo_u32 v32, v32, s13
	s_wait_loadcnt 0x0
	s_delay_alu instid0(VALU_DEP_1)
	v_add_nc_u32_e32 v31, v32, v31
	global_store_b32 v[10:11], v31, off
.LBB47_51:                              ;   in Loop: Header=BB47_45 Depth=1
	s_wait_xcnt 0x0
	s_and_not1_saveexec_b32 s22, s22
	s_cbranch_execz .LBB47_53
; %bb.52:                               ;   in Loop: Header=BB47_45 Depth=1
	ds_load_b32 v10, v30 offset:3068
	s_wait_dscnt 0x0
	v_add_nc_u32_e32 v14, v10, v14
.LBB47_53:                              ;   in Loop: Header=BB47_45 Depth=1
	s_or_b32 exec_lo, exec_lo, s22
.LBB47_54:                              ;   in Loop: Header=BB47_45 Depth=1
	s_delay_alu instid0(SALU_CYCLE_1)
	s_or_b32 exec_lo, exec_lo, s12
	s_wait_storecnt 0x0
	s_barrier_signal -1
	s_barrier_wait -1
	ds_store_b64 v1, v[2:3]
	ds_store_b32 v12, v14
	s_wait_dscnt 0x0
	s_barrier_signal -1
	s_barrier_wait -1
	s_and_saveexec_b32 s12, s3
	s_cbranch_execz .LBB47_58
; %bb.55:                               ;   in Loop: Header=BB47_45 Depth=1
	ds_load_b64 v[10:11], v13
	s_mov_b32 s22, exec_lo
	s_wait_dscnt 0x0
	v_cmpx_eq_u64_e64 v[2:3], v[10:11]
	s_cbranch_execz .LBB47_57
; %bb.56:                               ;   in Loop: Header=BB47_45 Depth=1
	ds_load_b32 v10, v22
	s_wait_dscnt 0x0
	v_add_nc_u32_e32 v14, v10, v14
.LBB47_57:                              ;   in Loop: Header=BB47_45 Depth=1
	s_or_b32 exec_lo, exec_lo, s22
.LBB47_58:                              ;   in Loop: Header=BB47_45 Depth=1
	s_delay_alu instid0(SALU_CYCLE_1)
	s_or_b32 exec_lo, exec_lo, s12
	s_barrier_signal -1
	s_barrier_wait -1
	ds_store_b32 v12, v14
	s_wait_dscnt 0x0
	s_barrier_signal -1
	s_barrier_wait -1
	s_and_saveexec_b32 s12, s4
	s_cbranch_execz .LBB47_62
; %bb.59:                               ;   in Loop: Header=BB47_45 Depth=1
	ds_load_b64 v[10:11], v15
	s_mov_b32 s22, exec_lo
	s_wait_dscnt 0x0
	v_cmpx_eq_u64_e64 v[2:3], v[10:11]
	s_cbranch_execz .LBB47_61
; %bb.60:                               ;   in Loop: Header=BB47_45 Depth=1
	ds_load_b32 v10, v23
	s_wait_dscnt 0x0
	v_add_nc_u32_e32 v14, v10, v14
.LBB47_61:                              ;   in Loop: Header=BB47_45 Depth=1
	s_or_b32 exec_lo, exec_lo, s22
.LBB47_62:                              ;   in Loop: Header=BB47_45 Depth=1
	s_delay_alu instid0(SALU_CYCLE_1)
	s_or_b32 exec_lo, exec_lo, s12
	s_barrier_signal -1
	s_barrier_wait -1
	;; [unrolled: 23-line block ×8, first 2 shown]
	ds_store_b32 v12, v14
	s_wait_dscnt 0x0
	s_barrier_signal -1
	s_barrier_wait -1
	s_and_saveexec_b32 s22, s11
	s_cbranch_execz .LBB47_44
; %bb.87:                               ;   in Loop: Header=BB47_45 Depth=1
	ds_load_b64 v[10:11], v1 offset:8
	v_cmp_lt_i64_e64 s12, -1, v[2:3]
	s_wait_dscnt 0x0
	v_cmp_ne_u64_e32 vcc_lo, v[2:3], v[10:11]
	s_and_b32 s12, s12, vcc_lo
	s_delay_alu instid0(SALU_CYCLE_1)
	s_and_b32 exec_lo, exec_lo, s12
	s_cbranch_execz .LBB47_44
; %bb.88:                               ;   in Loop: Header=BB47_45 Depth=1
	s_wait_kmcnt 0x0
	v_lshl_add_u64 v[10:11], v[2:3], 2, s[30:31]
	global_load_b32 v31, v[10:11], off
	s_wait_loadcnt 0x0
	v_mad_u32 v31, v14, s13, v31
	global_store_b32 v[10:11], v31, off
	s_branch .LBB47_44
.LBB47_89:
	s_load_b128 s[4:7], s[0:1], 0x40
	s_wait_xcnt 0x0
	s_mov_b32 s0, exec_lo
	v_cmpx_eq_u32_e32 0xff, v0
	s_cbranch_execz .LBB47_91
; %bb.90:
	v_mul_lo_u32 v0, v14, s13
	v_mov_b32_e32 v1, 0
	s_lshl_b64 s[0:1], s[28:29], 3
	s_lshl_b64 s[2:3], s[28:29], 2
	s_wait_kmcnt 0x0
	s_add_nc_u64 s[0:1], s[4:5], s[0:1]
	s_add_nc_u64 s[2:3], s[6:7], s[2:3]
	s_clause 0x1
	global_store_b64 v1, v[2:3], s[0:1] th:TH_STORE_NT
	global_store_b32 v1, v0, s[2:3] th:TH_STORE_NT
.LBB47_91:
	s_endpgm
	.section	.rodata,"a",@progbits
	.p2align	6, 0x0
	.amdhsa_kernel _ZN9rocsparseL22coomvn_segmented_loopsILj256ElaaiiEEvlT0_NS_24const_host_device_scalarIT4_EEPKS1_S6_PKT1_PKT2_PT3_PS1_PS3_21rocsparse_index_base_b
		.amdhsa_group_segment_fixed_size 3072
		.amdhsa_private_segment_fixed_size 0
		.amdhsa_kernarg_size 88
		.amdhsa_user_sgpr_count 2
		.amdhsa_user_sgpr_dispatch_ptr 0
		.amdhsa_user_sgpr_queue_ptr 0
		.amdhsa_user_sgpr_kernarg_segment_ptr 1
		.amdhsa_user_sgpr_dispatch_id 0
		.amdhsa_user_sgpr_kernarg_preload_length 0
		.amdhsa_user_sgpr_kernarg_preload_offset 0
		.amdhsa_user_sgpr_private_segment_size 0
		.amdhsa_wavefront_size32 1
		.amdhsa_uses_dynamic_stack 0
		.amdhsa_enable_private_segment 0
		.amdhsa_system_sgpr_workgroup_id_x 1
		.amdhsa_system_sgpr_workgroup_id_y 0
		.amdhsa_system_sgpr_workgroup_id_z 0
		.amdhsa_system_sgpr_workgroup_info 0
		.amdhsa_system_vgpr_workitem_id 0
		.amdhsa_next_free_vgpr 34
		.amdhsa_next_free_sgpr 36
		.amdhsa_named_barrier_count 0
		.amdhsa_reserve_vcc 1
		.amdhsa_float_round_mode_32 0
		.amdhsa_float_round_mode_16_64 0
		.amdhsa_float_denorm_mode_32 3
		.amdhsa_float_denorm_mode_16_64 3
		.amdhsa_fp16_overflow 0
		.amdhsa_memory_ordered 1
		.amdhsa_forward_progress 1
		.amdhsa_inst_pref_size 23
		.amdhsa_round_robin_scheduling 0
		.amdhsa_exception_fp_ieee_invalid_op 0
		.amdhsa_exception_fp_denorm_src 0
		.amdhsa_exception_fp_ieee_div_zero 0
		.amdhsa_exception_fp_ieee_overflow 0
		.amdhsa_exception_fp_ieee_underflow 0
		.amdhsa_exception_fp_ieee_inexact 0
		.amdhsa_exception_int_div_zero 0
	.end_amdhsa_kernel
	.section	.text._ZN9rocsparseL22coomvn_segmented_loopsILj256ElaaiiEEvlT0_NS_24const_host_device_scalarIT4_EEPKS1_S6_PKT1_PKT2_PT3_PS1_PS3_21rocsparse_index_base_b,"axG",@progbits,_ZN9rocsparseL22coomvn_segmented_loopsILj256ElaaiiEEvlT0_NS_24const_host_device_scalarIT4_EEPKS1_S6_PKT1_PKT2_PT3_PS1_PS3_21rocsparse_index_base_b,comdat
.Lfunc_end47:
	.size	_ZN9rocsparseL22coomvn_segmented_loopsILj256ElaaiiEEvlT0_NS_24const_host_device_scalarIT4_EEPKS1_S6_PKT1_PKT2_PT3_PS1_PS3_21rocsparse_index_base_b, .Lfunc_end47-_ZN9rocsparseL22coomvn_segmented_loopsILj256ElaaiiEEvlT0_NS_24const_host_device_scalarIT4_EEPKS1_S6_PKT1_PKT2_PT3_PS1_PS3_21rocsparse_index_base_b
                                        ; -- End function
	.set _ZN9rocsparseL22coomvn_segmented_loopsILj256ElaaiiEEvlT0_NS_24const_host_device_scalarIT4_EEPKS1_S6_PKT1_PKT2_PT3_PS1_PS3_21rocsparse_index_base_b.num_vgpr, 34
	.set _ZN9rocsparseL22coomvn_segmented_loopsILj256ElaaiiEEvlT0_NS_24const_host_device_scalarIT4_EEPKS1_S6_PKT1_PKT2_PT3_PS1_PS3_21rocsparse_index_base_b.num_agpr, 0
	.set _ZN9rocsparseL22coomvn_segmented_loopsILj256ElaaiiEEvlT0_NS_24const_host_device_scalarIT4_EEPKS1_S6_PKT1_PKT2_PT3_PS1_PS3_21rocsparse_index_base_b.numbered_sgpr, 36
	.set _ZN9rocsparseL22coomvn_segmented_loopsILj256ElaaiiEEvlT0_NS_24const_host_device_scalarIT4_EEPKS1_S6_PKT1_PKT2_PT3_PS1_PS3_21rocsparse_index_base_b.num_named_barrier, 0
	.set _ZN9rocsparseL22coomvn_segmented_loopsILj256ElaaiiEEvlT0_NS_24const_host_device_scalarIT4_EEPKS1_S6_PKT1_PKT2_PT3_PS1_PS3_21rocsparse_index_base_b.private_seg_size, 0
	.set _ZN9rocsparseL22coomvn_segmented_loopsILj256ElaaiiEEvlT0_NS_24const_host_device_scalarIT4_EEPKS1_S6_PKT1_PKT2_PT3_PS1_PS3_21rocsparse_index_base_b.uses_vcc, 1
	.set _ZN9rocsparseL22coomvn_segmented_loopsILj256ElaaiiEEvlT0_NS_24const_host_device_scalarIT4_EEPKS1_S6_PKT1_PKT2_PT3_PS1_PS3_21rocsparse_index_base_b.uses_flat_scratch, 0
	.set _ZN9rocsparseL22coomvn_segmented_loopsILj256ElaaiiEEvlT0_NS_24const_host_device_scalarIT4_EEPKS1_S6_PKT1_PKT2_PT3_PS1_PS3_21rocsparse_index_base_b.has_dyn_sized_stack, 0
	.set _ZN9rocsparseL22coomvn_segmented_loopsILj256ElaaiiEEvlT0_NS_24const_host_device_scalarIT4_EEPKS1_S6_PKT1_PKT2_PT3_PS1_PS3_21rocsparse_index_base_b.has_recursion, 0
	.set _ZN9rocsparseL22coomvn_segmented_loopsILj256ElaaiiEEvlT0_NS_24const_host_device_scalarIT4_EEPKS1_S6_PKT1_PKT2_PT3_PS1_PS3_21rocsparse_index_base_b.has_indirect_call, 0
	.section	.AMDGPU.csdata,"",@progbits
; Kernel info:
; codeLenInByte = 2820
; TotalNumSgprs: 38
; NumVgprs: 34
; ScratchSize: 0
; MemoryBound: 1
; FloatMode: 240
; IeeeMode: 1
; LDSByteSize: 3072 bytes/workgroup (compile time only)
; SGPRBlocks: 0
; VGPRBlocks: 2
; NumSGPRsForWavesPerEU: 38
; NumVGPRsForWavesPerEU: 34
; NamedBarCnt: 0
; Occupancy: 16
; WaveLimiterHint : 1
; COMPUTE_PGM_RSRC2:SCRATCH_EN: 0
; COMPUTE_PGM_RSRC2:USER_SGPR: 2
; COMPUTE_PGM_RSRC2:TRAP_HANDLER: 0
; COMPUTE_PGM_RSRC2:TGID_X_EN: 1
; COMPUTE_PGM_RSRC2:TGID_Y_EN: 0
; COMPUTE_PGM_RSRC2:TGID_Z_EN: 0
; COMPUTE_PGM_RSRC2:TIDIG_COMP_CNT: 0
	.section	.text._ZN9rocsparseL29coomvn_segmented_loops_reduceILj256EliiEEvT0_NS_24const_host_device_scalarIT2_EEPKS1_PKS3_PT1_b,"axG",@progbits,_ZN9rocsparseL29coomvn_segmented_loops_reduceILj256EliiEEvT0_NS_24const_host_device_scalarIT2_EEPKS1_PKS3_PT1_b,comdat
	.globl	_ZN9rocsparseL29coomvn_segmented_loops_reduceILj256EliiEEvT0_NS_24const_host_device_scalarIT2_EEPKS1_PKS3_PT1_b ; -- Begin function _ZN9rocsparseL29coomvn_segmented_loops_reduceILj256EliiEEvT0_NS_24const_host_device_scalarIT2_EEPKS1_PKS3_PT1_b
	.p2align	8
	.type	_ZN9rocsparseL29coomvn_segmented_loops_reduceILj256EliiEEvT0_NS_24const_host_device_scalarIT2_EEPKS1_PKS3_PT1_b,@function
_ZN9rocsparseL29coomvn_segmented_loops_reduceILj256EliiEEvT0_NS_24const_host_device_scalarIT2_EEPKS1_PKS3_PT1_b: ; @_ZN9rocsparseL29coomvn_segmented_loops_reduceILj256EliiEEvT0_NS_24const_host_device_scalarIT2_EEPKS1_PKS3_PT1_b
; %bb.0:
	s_clause 0x1
	s_load_b32 s2, s[0:1], 0x28
	s_load_b128 s[4:7], s[0:1], 0x0
	s_mov_b32 s3, 0
	s_wait_kmcnt 0x0
	s_bitcmp0_b32 s2, 0
	s_cbranch_scc0 .LBB48_2
; %bb.1:
	s_load_b32 s2, s[6:7], 0x0
	s_and_not1_b32 vcc_lo, exec_lo, s3
	s_cbranch_vccz .LBB48_3
	s_branch .LBB48_4
.LBB48_2:
                                        ; implicit-def: $sgpr2
.LBB48_3:
	s_wait_kmcnt 0x0
	s_mov_b32 s2, s6
.LBB48_4:
	s_wait_kmcnt 0x0
	s_cmp_eq_u32 s2, 0
	s_cbranch_scc1 .LBB48_46
; %bb.5:
	v_cmp_lt_i64_e64 s2, s[4:5], 1
	s_and_b32 vcc_lo, exec_lo, s2
	s_cbranch_vccnz .LBB48_46
; %bb.6:
	s_clause 0x1
	s_load_b128 s[8:11], s[0:1], 0x10
	s_load_b64 s[2:3], s[0:1], 0x20
	s_wait_xcnt 0x0
	v_sub_co_u32 v3, s0, v0, 1
	s_xor_b32 s12, s0, -1
	v_sub_co_u32 v5, s0, v0, 2
	v_lshl_add_u32 v14, v3, 2, 0x800
	s_xor_b32 s13, s0, -1
	v_sub_co_u32 v3, s0, v0, 4
	s_delay_alu instid0(VALU_DEP_3) | instskip(SKIP_2) | instid1(VALU_DEP_3)
	v_lshl_add_u32 v16, v5, 2, 0x800
	s_xor_b32 s14, s0, -1
	v_sub_co_u32 v5, s0, v0, 8
	v_lshl_add_u32 v18, v3, 2, 0x800
	s_xor_b32 s15, s0, -1
	v_sub_co_u32 v3, s0, v0, 16
	v_dual_mov_b32 v1, 0 :: v_dual_lshlrev_b32 v4, 2, v0
	v_lshl_add_u32 v20, v5, 2, 0x800
	s_xor_b32 s16, s0, -1
	v_sub_co_u32 v5, s0, v0, 32
	v_lshlrev_b32_e32 v2, 3, v0
	v_lshl_add_u32 v22, v3, 2, 0x800
	v_sub_co_u32 v6, s1, v0, 64
	s_delay_alu instid0(VALU_DEP_4)
	v_lshl_add_u32 v24, v5, 2, 0x800
	v_dual_mov_b32 v5, v1 :: v_dual_mov_b32 v3, v1
	v_subrev_co_u32 v8, s6, 0x80, v0
	v_or_b32_e32 v12, 0x800, v4
	v_lshl_add_u32 v26, v6, 2, 0x800
	s_wait_kmcnt 0x0
	v_add_nc_u64_e32 v[4:5], s[10:11], v[4:5]
	v_add_nc_u64_e32 v[6:7], s[8:9], v[2:3]
	v_dual_add_nc_u32 v13, -8, v2 :: v_dual_add_nc_u32 v15, -16, v2
	v_subrev_nc_u32_e32 v17, 32, v2
	v_subrev_nc_u32_e32 v19, 64, v2
	v_add_nc_u32_e32 v21, 0xffffff80, v2
	s_xor_b32 s17, s0, -1
	v_add_nc_u32_e32 v23, 0xffffff00, v2
	v_add_nc_u32_e32 v25, 0xfffffe00, v2
	;; [unrolled: 1-line block ×3, first 2 shown]
	v_lshl_add_u32 v3, v8, 2, 0x800
	v_cmp_gt_u32_e64 s0, 0xff, v0
	s_xor_b32 s8, s1, -1
	s_xor_b32 s9, s6, -1
	s_mov_b64 s[6:7], 0
	s_branch .LBB48_8
.LBB48_7:                               ;   in Loop: Header=BB48_8 Depth=1
	s_wait_xcnt 0x0
	s_or_b32 exec_lo, exec_lo, s1
	s_add_nc_u64 s[6:7], s[6:7], 0x100
	v_add_nc_u64_e32 v[4:5], 0x400, v[4:5]
	v_cmp_lt_i64_e64 s1, s[6:7], s[4:5]
	v_add_nc_u64_e32 v[6:7], 0x800, v[6:7]
	s_wait_storecnt 0x0
	s_barrier_signal -1
	s_barrier_wait -1
	s_and_b32 vcc_lo, exec_lo, s1
	s_cbranch_vccz .LBB48_46
.LBB48_8:                               ; =>This Inner Loop Header: Depth=1
	v_add_nc_u64_e32 v[8:9], s[6:7], v[0:1]
	v_mov_b32_e32 v10, 0
	s_delay_alu instid0(VALU_DEP_2)
	v_cmp_gt_i64_e32 vcc_lo, s[4:5], v[8:9]
	v_mov_b64_e32 v[8:9], -1
	s_and_saveexec_b32 s1, vcc_lo
	s_cbranch_execz .LBB48_10
; %bb.9:                                ;   in Loop: Header=BB48_8 Depth=1
	global_load_b64 v[8:9], v[6:7], off
	global_load_b32 v10, v[4:5], off
.LBB48_10:                              ;   in Loop: Header=BB48_8 Depth=1
	s_wait_xcnt 0x0
	s_or_b32 exec_lo, exec_lo, s1
	s_wait_loadcnt 0x1
	ds_store_b64 v2, v[8:9]
	s_wait_loadcnt 0x0
	ds_store_b32 v12, v10
	v_dual_mov_b32 v8, 0 :: v_dual_mov_b32 v9, 0
	s_wait_dscnt 0x0
	s_barrier_signal -1
	s_barrier_wait -1
	s_and_saveexec_b32 s1, s12
	s_cbranch_execz .LBB48_14
; %bb.11:                               ;   in Loop: Header=BB48_8 Depth=1
	ds_load_2addr_b64 v[28:31], v13 offset1:1
	v_mov_b32_e32 v9, 0
	s_mov_b32 s10, exec_lo
	s_wait_dscnt 0x0
	v_cmpx_eq_u64_e64 v[30:31], v[28:29]
; %bb.12:                               ;   in Loop: Header=BB48_8 Depth=1
	ds_load_b32 v9, v14
; %bb.13:                               ;   in Loop: Header=BB48_8 Depth=1
	s_or_b32 exec_lo, exec_lo, s10
.LBB48_14:                              ;   in Loop: Header=BB48_8 Depth=1
	s_delay_alu instid0(SALU_CYCLE_1)
	s_or_b32 exec_lo, exec_lo, s1
	s_wait_dscnt 0x0
	s_barrier_signal -1
	s_barrier_wait -1
	ds_load_b32 v10, v12
	s_wait_dscnt 0x0
	v_add_nc_u32_e32 v9, v10, v9
	ds_store_b32 v12, v9
	s_wait_dscnt 0x0
	s_barrier_signal -1
	s_barrier_wait -1
	s_and_saveexec_b32 s1, s13
	s_cbranch_execz .LBB48_18
; %bb.15:                               ;   in Loop: Header=BB48_8 Depth=1
	ds_load_b64 v[8:9], v2
	ds_load_b64 v[10:11], v15
	s_wait_dscnt 0x0
	v_cmp_eq_u64_e32 vcc_lo, v[8:9], v[10:11]
	v_mov_b32_e32 v8, 0
	s_and_saveexec_b32 s10, vcc_lo
; %bb.16:                               ;   in Loop: Header=BB48_8 Depth=1
	ds_load_b32 v8, v16
; %bb.17:                               ;   in Loop: Header=BB48_8 Depth=1
	s_or_b32 exec_lo, exec_lo, s10
.LBB48_18:                              ;   in Loop: Header=BB48_8 Depth=1
	s_delay_alu instid0(SALU_CYCLE_1)
	s_or_b32 exec_lo, exec_lo, s1
	s_wait_dscnt 0x0
	s_barrier_signal -1
	s_barrier_wait -1
	ds_load_b32 v9, v12
	s_wait_dscnt 0x0
	v_dual_add_nc_u32 v10, v9, v8 :: v_dual_mov_b32 v8, 0
	v_mov_b32_e32 v9, 0
	ds_store_b32 v12, v10
	s_wait_dscnt 0x0
	s_barrier_signal -1
	s_barrier_wait -1
	s_and_saveexec_b32 s1, s14
	s_cbranch_execz .LBB48_22
; %bb.19:                               ;   in Loop: Header=BB48_8 Depth=1
	ds_load_b64 v[10:11], v2
	ds_load_b64 v[28:29], v17
	v_mov_b32_e32 v9, 0
	s_mov_b32 s10, exec_lo
	s_wait_dscnt 0x0
	v_cmpx_eq_u64_e64 v[10:11], v[28:29]
; %bb.20:                               ;   in Loop: Header=BB48_8 Depth=1
	ds_load_b32 v9, v18
; %bb.21:                               ;   in Loop: Header=BB48_8 Depth=1
	s_or_b32 exec_lo, exec_lo, s10
.LBB48_22:                              ;   in Loop: Header=BB48_8 Depth=1
	s_delay_alu instid0(SALU_CYCLE_1)
	s_or_b32 exec_lo, exec_lo, s1
	s_wait_dscnt 0x0
	s_barrier_signal -1
	s_barrier_wait -1
	ds_load_b32 v10, v12
	s_wait_dscnt 0x0
	v_add_nc_u32_e32 v9, v10, v9
	ds_store_b32 v12, v9
	s_wait_dscnt 0x0
	s_barrier_signal -1
	s_barrier_wait -1
	s_and_saveexec_b32 s1, s15
	s_cbranch_execz .LBB48_26
; %bb.23:                               ;   in Loop: Header=BB48_8 Depth=1
	ds_load_b64 v[8:9], v2
	ds_load_b64 v[10:11], v19
	s_wait_dscnt 0x0
	v_cmp_eq_u64_e32 vcc_lo, v[8:9], v[10:11]
	v_mov_b32_e32 v8, 0
	s_and_saveexec_b32 s10, vcc_lo
; %bb.24:                               ;   in Loop: Header=BB48_8 Depth=1
	ds_load_b32 v8, v20
; %bb.25:                               ;   in Loop: Header=BB48_8 Depth=1
	s_or_b32 exec_lo, exec_lo, s10
.LBB48_26:                              ;   in Loop: Header=BB48_8 Depth=1
	s_delay_alu instid0(SALU_CYCLE_1)
	s_or_b32 exec_lo, exec_lo, s1
	s_wait_dscnt 0x0
	s_barrier_signal -1
	s_barrier_wait -1
	ds_load_b32 v9, v12
	s_wait_dscnt 0x0
	v_dual_add_nc_u32 v10, v9, v8 :: v_dual_mov_b32 v8, 0
	v_mov_b32_e32 v9, 0
	ds_store_b32 v12, v10
	s_wait_dscnt 0x0
	s_barrier_signal -1
	s_barrier_wait -1
	s_and_saveexec_b32 s1, s16
	s_cbranch_execz .LBB48_30
; %bb.27:                               ;   in Loop: Header=BB48_8 Depth=1
	ds_load_b64 v[10:11], v2
	ds_load_b64 v[28:29], v21
	v_mov_b32_e32 v9, 0
	s_mov_b32 s10, exec_lo
	s_wait_dscnt 0x0
	v_cmpx_eq_u64_e64 v[10:11], v[28:29]
; %bb.28:                               ;   in Loop: Header=BB48_8 Depth=1
	ds_load_b32 v9, v22
; %bb.29:                               ;   in Loop: Header=BB48_8 Depth=1
	s_or_b32 exec_lo, exec_lo, s10
.LBB48_30:                              ;   in Loop: Header=BB48_8 Depth=1
	;; [unrolled: 53-line block ×3, first 2 shown]
	s_delay_alu instid0(SALU_CYCLE_1)
	s_or_b32 exec_lo, exec_lo, s1
	s_wait_dscnt 0x0
	s_barrier_signal -1
	s_barrier_wait -1
	ds_load_b32 v10, v12
	s_wait_dscnt 0x0
	v_add_nc_u32_e32 v9, v10, v9
	ds_store_b32 v12, v9
	s_wait_dscnt 0x0
	s_barrier_signal -1
	s_barrier_wait -1
	s_and_saveexec_b32 s1, s9
	s_cbranch_execz .LBB48_42
; %bb.39:                               ;   in Loop: Header=BB48_8 Depth=1
	ds_load_b64 v[8:9], v2
	ds_load_b64 v[10:11], v27
	s_wait_dscnt 0x0
	v_cmp_eq_u64_e32 vcc_lo, v[8:9], v[10:11]
	v_mov_b32_e32 v8, 0
	s_and_saveexec_b32 s10, vcc_lo
; %bb.40:                               ;   in Loop: Header=BB48_8 Depth=1
	ds_load_b32 v8, v3
; %bb.41:                               ;   in Loop: Header=BB48_8 Depth=1
	s_or_b32 exec_lo, exec_lo, s10
.LBB48_42:                              ;   in Loop: Header=BB48_8 Depth=1
	s_delay_alu instid0(SALU_CYCLE_1)
	s_or_b32 exec_lo, exec_lo, s1
	s_wait_dscnt 0x0
	s_barrier_signal -1
	s_barrier_wait -1
	ds_load_b32 v9, v12
	v_mov_b64_e32 v[10:11], -1
	s_wait_dscnt 0x0
	v_add_nc_u32_e32 v8, v9, v8
	ds_store_b32 v12, v8
	s_wait_dscnt 0x0
	s_barrier_signal -1
	s_barrier_wait -1
	ds_load_b64 v[8:9], v2
	s_and_saveexec_b32 s1, s0
; %bb.43:                               ;   in Loop: Header=BB48_8 Depth=1
	ds_load_b64 v[10:11], v2 offset:8
; %bb.44:                               ;   in Loop: Header=BB48_8 Depth=1
	s_or_b32 exec_lo, exec_lo, s1
	s_wait_dscnt 0x0
	v_cmp_ne_u64_e32 vcc_lo, v[8:9], v[10:11]
	v_cmp_lt_i64_e64 s1, -1, v[8:9]
	s_and_b32 s10, s1, vcc_lo
	s_delay_alu instid0(SALU_CYCLE_1)
	s_and_saveexec_b32 s1, s10
	s_cbranch_execz .LBB48_7
; %bb.45:                               ;   in Loop: Header=BB48_8 Depth=1
	v_lshl_add_u64 v[8:9], v[8:9], 2, s[2:3]
	ds_load_b32 v11, v12
	global_load_b32 v10, v[8:9], off
	s_wait_loadcnt_dscnt 0x0
	v_add_nc_u32_e32 v10, v11, v10
	global_store_b32 v[8:9], v10, off
	s_branch .LBB48_7
.LBB48_46:
	s_endpgm
	.section	.rodata,"a",@progbits
	.p2align	6, 0x0
	.amdhsa_kernel _ZN9rocsparseL29coomvn_segmented_loops_reduceILj256EliiEEvT0_NS_24const_host_device_scalarIT2_EEPKS1_PKS3_PT1_b
		.amdhsa_group_segment_fixed_size 3072
		.amdhsa_private_segment_fixed_size 0
		.amdhsa_kernarg_size 44
		.amdhsa_user_sgpr_count 2
		.amdhsa_user_sgpr_dispatch_ptr 0
		.amdhsa_user_sgpr_queue_ptr 0
		.amdhsa_user_sgpr_kernarg_segment_ptr 1
		.amdhsa_user_sgpr_dispatch_id 0
		.amdhsa_user_sgpr_kernarg_preload_length 0
		.amdhsa_user_sgpr_kernarg_preload_offset 0
		.amdhsa_user_sgpr_private_segment_size 0
		.amdhsa_wavefront_size32 1
		.amdhsa_uses_dynamic_stack 0
		.amdhsa_enable_private_segment 0
		.amdhsa_system_sgpr_workgroup_id_x 1
		.amdhsa_system_sgpr_workgroup_id_y 0
		.amdhsa_system_sgpr_workgroup_id_z 0
		.amdhsa_system_sgpr_workgroup_info 0
		.amdhsa_system_vgpr_workitem_id 0
		.amdhsa_next_free_vgpr 32
		.amdhsa_next_free_sgpr 18
		.amdhsa_named_barrier_count 0
		.amdhsa_reserve_vcc 1
		.amdhsa_float_round_mode_32 0
		.amdhsa_float_round_mode_16_64 0
		.amdhsa_float_denorm_mode_32 3
		.amdhsa_float_denorm_mode_16_64 3
		.amdhsa_fp16_overflow 0
		.amdhsa_memory_ordered 1
		.amdhsa_forward_progress 1
		.amdhsa_inst_pref_size 13
		.amdhsa_round_robin_scheduling 0
		.amdhsa_exception_fp_ieee_invalid_op 0
		.amdhsa_exception_fp_denorm_src 0
		.amdhsa_exception_fp_ieee_div_zero 0
		.amdhsa_exception_fp_ieee_overflow 0
		.amdhsa_exception_fp_ieee_underflow 0
		.amdhsa_exception_fp_ieee_inexact 0
		.amdhsa_exception_int_div_zero 0
	.end_amdhsa_kernel
	.section	.text._ZN9rocsparseL29coomvn_segmented_loops_reduceILj256EliiEEvT0_NS_24const_host_device_scalarIT2_EEPKS1_PKS3_PT1_b,"axG",@progbits,_ZN9rocsparseL29coomvn_segmented_loops_reduceILj256EliiEEvT0_NS_24const_host_device_scalarIT2_EEPKS1_PKS3_PT1_b,comdat
.Lfunc_end48:
	.size	_ZN9rocsparseL29coomvn_segmented_loops_reduceILj256EliiEEvT0_NS_24const_host_device_scalarIT2_EEPKS1_PKS3_PT1_b, .Lfunc_end48-_ZN9rocsparseL29coomvn_segmented_loops_reduceILj256EliiEEvT0_NS_24const_host_device_scalarIT2_EEPKS1_PKS3_PT1_b
                                        ; -- End function
	.set _ZN9rocsparseL29coomvn_segmented_loops_reduceILj256EliiEEvT0_NS_24const_host_device_scalarIT2_EEPKS1_PKS3_PT1_b.num_vgpr, 32
	.set _ZN9rocsparseL29coomvn_segmented_loops_reduceILj256EliiEEvT0_NS_24const_host_device_scalarIT2_EEPKS1_PKS3_PT1_b.num_agpr, 0
	.set _ZN9rocsparseL29coomvn_segmented_loops_reduceILj256EliiEEvT0_NS_24const_host_device_scalarIT2_EEPKS1_PKS3_PT1_b.numbered_sgpr, 18
	.set _ZN9rocsparseL29coomvn_segmented_loops_reduceILj256EliiEEvT0_NS_24const_host_device_scalarIT2_EEPKS1_PKS3_PT1_b.num_named_barrier, 0
	.set _ZN9rocsparseL29coomvn_segmented_loops_reduceILj256EliiEEvT0_NS_24const_host_device_scalarIT2_EEPKS1_PKS3_PT1_b.private_seg_size, 0
	.set _ZN9rocsparseL29coomvn_segmented_loops_reduceILj256EliiEEvT0_NS_24const_host_device_scalarIT2_EEPKS1_PKS3_PT1_b.uses_vcc, 1
	.set _ZN9rocsparseL29coomvn_segmented_loops_reduceILj256EliiEEvT0_NS_24const_host_device_scalarIT2_EEPKS1_PKS3_PT1_b.uses_flat_scratch, 0
	.set _ZN9rocsparseL29coomvn_segmented_loops_reduceILj256EliiEEvT0_NS_24const_host_device_scalarIT2_EEPKS1_PKS3_PT1_b.has_dyn_sized_stack, 0
	.set _ZN9rocsparseL29coomvn_segmented_loops_reduceILj256EliiEEvT0_NS_24const_host_device_scalarIT2_EEPKS1_PKS3_PT1_b.has_recursion, 0
	.set _ZN9rocsparseL29coomvn_segmented_loops_reduceILj256EliiEEvT0_NS_24const_host_device_scalarIT2_EEPKS1_PKS3_PT1_b.has_indirect_call, 0
	.section	.AMDGPU.csdata,"",@progbits
; Kernel info:
; codeLenInByte = 1624
; TotalNumSgprs: 20
; NumVgprs: 32
; ScratchSize: 0
; MemoryBound: 0
; FloatMode: 240
; IeeeMode: 1
; LDSByteSize: 3072 bytes/workgroup (compile time only)
; SGPRBlocks: 0
; VGPRBlocks: 1
; NumSGPRsForWavesPerEU: 20
; NumVGPRsForWavesPerEU: 32
; NamedBarCnt: 0
; Occupancy: 16
; WaveLimiterHint : 0
; COMPUTE_PGM_RSRC2:SCRATCH_EN: 0
; COMPUTE_PGM_RSRC2:USER_SGPR: 2
; COMPUTE_PGM_RSRC2:TRAP_HANDLER: 0
; COMPUTE_PGM_RSRC2:TGID_X_EN: 1
; COMPUTE_PGM_RSRC2:TGID_Y_EN: 0
; COMPUTE_PGM_RSRC2:TGID_Z_EN: 0
; COMPUTE_PGM_RSRC2:TIDIG_COMP_CNT: 0
	.section	.text._ZN9rocsparseL13coomvt_kernelILj1024ElaaiiEEv20rocsparse_operation_lNS_24const_host_device_scalarIT4_EEPKT0_S7_PKT1_PKT2_PT3_21rocsparse_index_base_b,"axG",@progbits,_ZN9rocsparseL13coomvt_kernelILj1024ElaaiiEEv20rocsparse_operation_lNS_24const_host_device_scalarIT4_EEPKT0_S7_PKT1_PKT2_PT3_21rocsparse_index_base_b,comdat
	.globl	_ZN9rocsparseL13coomvt_kernelILj1024ElaaiiEEv20rocsparse_operation_lNS_24const_host_device_scalarIT4_EEPKT0_S7_PKT1_PKT2_PT3_21rocsparse_index_base_b ; -- Begin function _ZN9rocsparseL13coomvt_kernelILj1024ElaaiiEEv20rocsparse_operation_lNS_24const_host_device_scalarIT4_EEPKT0_S7_PKT1_PKT2_PT3_21rocsparse_index_base_b
	.p2align	8
	.type	_ZN9rocsparseL13coomvt_kernelILj1024ElaaiiEEv20rocsparse_operation_lNS_24const_host_device_scalarIT4_EEPKT0_S7_PKT1_PKT2_PT3_21rocsparse_index_base_b,@function
_ZN9rocsparseL13coomvt_kernelILj1024ElaaiiEEv20rocsparse_operation_lNS_24const_host_device_scalarIT4_EEPKT0_S7_PKT1_PKT2_PT3_21rocsparse_index_base_b: ; @_ZN9rocsparseL13coomvt_kernelILj1024ElaaiiEEv20rocsparse_operation_lNS_24const_host_device_scalarIT4_EEPKT0_S7_PKT1_PKT2_PT3_21rocsparse_index_base_b
; %bb.0:
	s_clause 0x1
	s_load_b64 s[2:3], s[0:1], 0x40
	s_load_b128 s[4:7], s[0:1], 0x8
	s_wait_kmcnt 0x0
	s_bitcmp0_b32 s3, 0
	s_mov_b32 s3, 0
	s_cbranch_scc0 .LBB49_2
; %bb.1:
	s_load_b32 s7, s[6:7], 0x0
	s_and_not1_b32 vcc_lo, exec_lo, s3
	s_cbranch_vccz .LBB49_3
	s_branch .LBB49_4
.LBB49_2:
                                        ; implicit-def: $sgpr7
.LBB49_3:
	s_wait_kmcnt 0x0
	s_mov_b32 s7, s6
.LBB49_4:
	s_wait_kmcnt 0x0
	s_cmp_eq_u32 s7, 0
	s_cbranch_scc1 .LBB49_7
; %bb.5:
	s_load_b32 s3, s[0:1], 0x54
	s_bfe_u32 s6, ttmp6, 0x4000c
	s_and_b32 s8, ttmp6, 15
	s_add_co_i32 s6, s6, 1
	s_getreg_b32 s9, hwreg(HW_REG_IB_STS2, 6, 4)
	s_mul_i32 s6, ttmp9, s6
	v_mov_b32_e32 v1, 0
	s_add_co_i32 s8, s8, s6
	s_wait_kmcnt 0x0
	s_and_b32 s3, s3, 0xffff
	s_cmp_eq_u32 s9, 0
	s_cselect_b32 s6, ttmp9, s8
	s_delay_alu instid0(SALU_CYCLE_1) | instskip(SKIP_1) | instid1(VALU_DEP_1)
	v_mad_u32 v0, s6, s3, v0
	s_mov_b32 s3, exec_lo
	v_cmpx_gt_i64_e64 s[4:5], v[0:1]
	s_cbranch_execz .LBB49_7
; %bb.6:
	s_load_b256 s[8:15], s[0:1], 0x18
	v_lshlrev_b64_e32 v[2:3], 3, v[0:1]
	s_mov_b32 s3, 0
	s_wait_xcnt 0x0
	s_load_b64 s[0:1], s[0:1], 0x38
	s_wait_kmcnt 0x0
	s_delay_alu instid0(VALU_DEP_1)
	v_add_nc_u64_e32 v[4:5], s[8:9], v[2:3]
	v_add_nc_u64_e32 v[0:1], s[12:13], v[0:1]
	global_load_b64 v[4:5], v[4:5], off
	global_load_i8 v6, v[0:1], off
	s_wait_xcnt 0x0
	v_add_nc_u64_e32 v[0:1], s[10:11], v[2:3]
	s_wait_loadcnt 0x1
	v_sub_nc_u64_e64 v[4:5], v[4:5], s[2:3]
	s_delay_alu instid0(VALU_DEP_1)
	v_add_nc_u64_e32 v[2:3], s[14:15], v[4:5]
	global_load_b64 v[4:5], v[0:1], off
	global_load_i8 v7, v[2:3], off
	s_wait_loadcnt 0x2
	s_wait_xcnt 0x0
	v_mul_lo_u32 v2, s7, v6
	s_wait_loadcnt 0x1
	v_sub_nc_u64_e64 v[0:1], v[4:5], s[2:3]
	s_wait_loadcnt 0x0
	s_delay_alu instid0(VALU_DEP_2) | instskip(NEXT) | instid1(VALU_DEP_2)
	v_mul_lo_u32 v2, v2, v7
	v_lshl_add_u64 v[0:1], v[0:1], 2, s[0:1]
	global_atomic_add_u32 v[0:1], v2, off scope:SCOPE_DEV
.LBB49_7:
	s_endpgm
	.section	.rodata,"a",@progbits
	.p2align	6, 0x0
	.amdhsa_kernel _ZN9rocsparseL13coomvt_kernelILj1024ElaaiiEEv20rocsparse_operation_lNS_24const_host_device_scalarIT4_EEPKT0_S7_PKT1_PKT2_PT3_21rocsparse_index_base_b
		.amdhsa_group_segment_fixed_size 0
		.amdhsa_private_segment_fixed_size 0
		.amdhsa_kernarg_size 328
		.amdhsa_user_sgpr_count 2
		.amdhsa_user_sgpr_dispatch_ptr 0
		.amdhsa_user_sgpr_queue_ptr 0
		.amdhsa_user_sgpr_kernarg_segment_ptr 1
		.amdhsa_user_sgpr_dispatch_id 0
		.amdhsa_user_sgpr_kernarg_preload_length 0
		.amdhsa_user_sgpr_kernarg_preload_offset 0
		.amdhsa_user_sgpr_private_segment_size 0
		.amdhsa_wavefront_size32 1
		.amdhsa_uses_dynamic_stack 0
		.amdhsa_enable_private_segment 0
		.amdhsa_system_sgpr_workgroup_id_x 1
		.amdhsa_system_sgpr_workgroup_id_y 0
		.amdhsa_system_sgpr_workgroup_id_z 0
		.amdhsa_system_sgpr_workgroup_info 0
		.amdhsa_system_vgpr_workitem_id 0
		.amdhsa_next_free_vgpr 8
		.amdhsa_next_free_sgpr 16
		.amdhsa_named_barrier_count 0
		.amdhsa_reserve_vcc 1
		.amdhsa_float_round_mode_32 0
		.amdhsa_float_round_mode_16_64 0
		.amdhsa_float_denorm_mode_32 3
		.amdhsa_float_denorm_mode_16_64 3
		.amdhsa_fp16_overflow 0
		.amdhsa_memory_ordered 1
		.amdhsa_forward_progress 1
		.amdhsa_inst_pref_size 3
		.amdhsa_round_robin_scheduling 0
		.amdhsa_exception_fp_ieee_invalid_op 0
		.amdhsa_exception_fp_denorm_src 0
		.amdhsa_exception_fp_ieee_div_zero 0
		.amdhsa_exception_fp_ieee_overflow 0
		.amdhsa_exception_fp_ieee_underflow 0
		.amdhsa_exception_fp_ieee_inexact 0
		.amdhsa_exception_int_div_zero 0
	.end_amdhsa_kernel
	.section	.text._ZN9rocsparseL13coomvt_kernelILj1024ElaaiiEEv20rocsparse_operation_lNS_24const_host_device_scalarIT4_EEPKT0_S7_PKT1_PKT2_PT3_21rocsparse_index_base_b,"axG",@progbits,_ZN9rocsparseL13coomvt_kernelILj1024ElaaiiEEv20rocsparse_operation_lNS_24const_host_device_scalarIT4_EEPKT0_S7_PKT1_PKT2_PT3_21rocsparse_index_base_b,comdat
.Lfunc_end49:
	.size	_ZN9rocsparseL13coomvt_kernelILj1024ElaaiiEEv20rocsparse_operation_lNS_24const_host_device_scalarIT4_EEPKT0_S7_PKT1_PKT2_PT3_21rocsparse_index_base_b, .Lfunc_end49-_ZN9rocsparseL13coomvt_kernelILj1024ElaaiiEEv20rocsparse_operation_lNS_24const_host_device_scalarIT4_EEPKT0_S7_PKT1_PKT2_PT3_21rocsparse_index_base_b
                                        ; -- End function
	.set _ZN9rocsparseL13coomvt_kernelILj1024ElaaiiEEv20rocsparse_operation_lNS_24const_host_device_scalarIT4_EEPKT0_S7_PKT1_PKT2_PT3_21rocsparse_index_base_b.num_vgpr, 8
	.set _ZN9rocsparseL13coomvt_kernelILj1024ElaaiiEEv20rocsparse_operation_lNS_24const_host_device_scalarIT4_EEPKT0_S7_PKT1_PKT2_PT3_21rocsparse_index_base_b.num_agpr, 0
	.set _ZN9rocsparseL13coomvt_kernelILj1024ElaaiiEEv20rocsparse_operation_lNS_24const_host_device_scalarIT4_EEPKT0_S7_PKT1_PKT2_PT3_21rocsparse_index_base_b.numbered_sgpr, 16
	.set _ZN9rocsparseL13coomvt_kernelILj1024ElaaiiEEv20rocsparse_operation_lNS_24const_host_device_scalarIT4_EEPKT0_S7_PKT1_PKT2_PT3_21rocsparse_index_base_b.num_named_barrier, 0
	.set _ZN9rocsparseL13coomvt_kernelILj1024ElaaiiEEv20rocsparse_operation_lNS_24const_host_device_scalarIT4_EEPKT0_S7_PKT1_PKT2_PT3_21rocsparse_index_base_b.private_seg_size, 0
	.set _ZN9rocsparseL13coomvt_kernelILj1024ElaaiiEEv20rocsparse_operation_lNS_24const_host_device_scalarIT4_EEPKT0_S7_PKT1_PKT2_PT3_21rocsparse_index_base_b.uses_vcc, 1
	.set _ZN9rocsparseL13coomvt_kernelILj1024ElaaiiEEv20rocsparse_operation_lNS_24const_host_device_scalarIT4_EEPKT0_S7_PKT1_PKT2_PT3_21rocsparse_index_base_b.uses_flat_scratch, 0
	.set _ZN9rocsparseL13coomvt_kernelILj1024ElaaiiEEv20rocsparse_operation_lNS_24const_host_device_scalarIT4_EEPKT0_S7_PKT1_PKT2_PT3_21rocsparse_index_base_b.has_dyn_sized_stack, 0
	.set _ZN9rocsparseL13coomvt_kernelILj1024ElaaiiEEv20rocsparse_operation_lNS_24const_host_device_scalarIT4_EEPKT0_S7_PKT1_PKT2_PT3_21rocsparse_index_base_b.has_recursion, 0
	.set _ZN9rocsparseL13coomvt_kernelILj1024ElaaiiEEv20rocsparse_operation_lNS_24const_host_device_scalarIT4_EEPKT0_S7_PKT1_PKT2_PT3_21rocsparse_index_base_b.has_indirect_call, 0
	.section	.AMDGPU.csdata,"",@progbits
; Kernel info:
; codeLenInByte = 352
; TotalNumSgprs: 18
; NumVgprs: 8
; ScratchSize: 0
; MemoryBound: 0
; FloatMode: 240
; IeeeMode: 1
; LDSByteSize: 0 bytes/workgroup (compile time only)
; SGPRBlocks: 0
; VGPRBlocks: 0
; NumSGPRsForWavesPerEU: 18
; NumVGPRsForWavesPerEU: 8
; NamedBarCnt: 0
; Occupancy: 16
; WaveLimiterHint : 1
; COMPUTE_PGM_RSRC2:SCRATCH_EN: 0
; COMPUTE_PGM_RSRC2:USER_SGPR: 2
; COMPUTE_PGM_RSRC2:TRAP_HANDLER: 0
; COMPUTE_PGM_RSRC2:TGID_X_EN: 1
; COMPUTE_PGM_RSRC2:TGID_Y_EN: 0
; COMPUTE_PGM_RSRC2:TGID_Z_EN: 0
; COMPUTE_PGM_RSRC2:TIDIG_COMP_CNT: 0
	.section	.text._ZN9rocsparseL19coomvn_atomic_loopsILj256ELj1ElaaiiEEvlNS_24const_host_device_scalarIT5_EEPKT1_S6_PKT2_PKT3_PT4_21rocsparse_index_base_b,"axG",@progbits,_ZN9rocsparseL19coomvn_atomic_loopsILj256ELj1ElaaiiEEvlNS_24const_host_device_scalarIT5_EEPKT1_S6_PKT2_PKT3_PT4_21rocsparse_index_base_b,comdat
	.globl	_ZN9rocsparseL19coomvn_atomic_loopsILj256ELj1ElaaiiEEvlNS_24const_host_device_scalarIT5_EEPKT1_S6_PKT2_PKT3_PT4_21rocsparse_index_base_b ; -- Begin function _ZN9rocsparseL19coomvn_atomic_loopsILj256ELj1ElaaiiEEvlNS_24const_host_device_scalarIT5_EEPKT1_S6_PKT2_PKT3_PT4_21rocsparse_index_base_b
	.p2align	8
	.type	_ZN9rocsparseL19coomvn_atomic_loopsILj256ELj1ElaaiiEEvlNS_24const_host_device_scalarIT5_EEPKT1_S6_PKT2_PKT3_PT4_21rocsparse_index_base_b,@function
_ZN9rocsparseL19coomvn_atomic_loopsILj256ELj1ElaaiiEEvlNS_24const_host_device_scalarIT5_EEPKT1_S6_PKT2_PKT3_PT4_21rocsparse_index_base_b: ; @_ZN9rocsparseL19coomvn_atomic_loopsILj256ELj1ElaaiiEEvlNS_24const_host_device_scalarIT5_EEPKT1_S6_PKT2_PKT3_PT4_21rocsparse_index_base_b
; %bb.0:
	s_clause 0x1
	s_load_b64 s[2:3], s[0:1], 0x38
	s_load_b128 s[4:7], s[0:1], 0x0
	s_wait_kmcnt 0x0
	s_bitcmp0_b32 s3, 0
	s_mov_b32 s3, 0
	s_cbranch_scc0 .LBB50_2
; %bb.1:
	s_load_b32 s7, s[6:7], 0x0
	s_and_not1_b32 vcc_lo, exec_lo, s3
	s_cbranch_vccz .LBB50_3
	s_branch .LBB50_4
.LBB50_2:
                                        ; implicit-def: $sgpr7
.LBB50_3:
	s_wait_kmcnt 0x0
	s_mov_b32 s7, s6
.LBB50_4:
	s_wait_kmcnt 0x0
	s_cmp_eq_u32 s7, 0
	s_cbranch_scc1 .LBB50_44
; %bb.5:
	s_bfe_u32 s3, ttmp6, 0x4000c
	s_and_b32 s6, ttmp6, 15
	s_add_co_i32 s3, s3, 1
	s_getreg_b32 s8, hwreg(HW_REG_IB_STS2, 6, 4)
	s_mul_i32 s3, ttmp9, s3
	v_mov_b32_e32 v3, 0
	s_add_co_i32 s6, s6, s3
	s_cmp_eq_u32 s8, 0
	v_mov_b64_e32 v[4:5], -1
	s_cselect_b32 s3, ttmp9, s6
	s_delay_alu instid0(SALU_CYCLE_1) | instskip(NEXT) | instid1(VALU_DEP_1)
	v_lshl_or_b32 v2, s3, 8, v0
	v_cmp_gt_i64_e32 vcc_lo, s[4:5], v[2:3]
	s_and_saveexec_b32 s4, vcc_lo
	s_cbranch_execz .LBB50_7
; %bb.6:
	s_load_b256 s[8:15], s[0:1], 0x10
	v_lshlrev_b64_e32 v[4:5], 3, v[2:3]
	s_mov_b32 s3, 0
	s_wait_kmcnt 0x0
	s_delay_alu instid0(VALU_DEP_1)
	v_add_nc_u64_e32 v[6:7], s[10:11], v[4:5]
	v_add_nc_u64_e32 v[4:5], s[8:9], v[4:5]
	;; [unrolled: 1-line block ×3, first 2 shown]
	global_load_b64 v[6:7], v[6:7], off th:TH_LOAD_NT
	s_wait_loadcnt 0x0
	v_sub_nc_u64_e64 v[6:7], v[6:7], s[2:3]
	s_delay_alu instid0(VALU_DEP_1)
	v_add_nc_u64_e32 v[6:7], s[14:15], v[6:7]
	global_load_b64 v[8:9], v[4:5], off th:TH_LOAD_NT
	global_load_i8 v1, v[2:3], off th:TH_LOAD_NT
	global_load_i8 v10, v[6:7], off
	s_wait_loadcnt 0x2
	s_wait_xcnt 0x2
	v_sub_nc_u64_e64 v[4:5], v[8:9], s[2:3]
	s_wait_loadcnt 0x0
	v_mul_i32_i24_e32 v3, v10, v1
.LBB50_7:
	s_or_b32 exec_lo, exec_lo, s4
	v_dual_lshlrev_b32 v6, 2, v0 :: v_dual_lshlrev_b32 v1, 3, v0
	s_mov_b32 s2, exec_lo
	ds_store_b64 v1, v[4:5]
	ds_store_b32 v6, v3 offset:2048
	v_or_b32_e32 v2, 0x800, v6
	s_wait_dscnt 0x0
	s_barrier_signal -1
	s_barrier_wait -1
	v_cmpx_ne_u32_e32 0, v0
	s_cbranch_execz .LBB50_11
; %bb.8:
	v_add_nc_u32_e32 v6, -8, v1
	s_mov_b32 s3, exec_lo
	ds_load_b64 v[6:7], v6
	s_wait_dscnt 0x0
	v_cmpx_eq_u64_e64 v[4:5], v[6:7]
	s_cbranch_execz .LBB50_10
; %bb.9:
	v_add_nc_u32_e32 v6, -4, v2
	ds_load_b32 v6, v6
	s_wait_dscnt 0x0
	v_add_nc_u32_e32 v3, v6, v3
.LBB50_10:
	s_or_b32 exec_lo, exec_lo, s3
.LBB50_11:
	s_delay_alu instid0(SALU_CYCLE_1) | instskip(NEXT) | instid1(SALU_CYCLE_1)
	s_or_b32 exec_lo, exec_lo, s2
	s_mov_b32 s2, exec_lo
	s_barrier_signal -1
	s_barrier_wait -1
	ds_store_b32 v2, v3
	s_wait_dscnt 0x0
	s_barrier_signal -1
	s_barrier_wait -1
	v_cmpx_lt_u32_e32 1, v0
	s_cbranch_execz .LBB50_15
; %bb.12:
	v_add_nc_u32_e32 v6, -16, v1
	s_mov_b32 s3, exec_lo
	ds_load_b64 v[6:7], v6
	s_wait_dscnt 0x0
	v_cmpx_eq_u64_e64 v[4:5], v[6:7]
	s_cbranch_execz .LBB50_14
; %bb.13:
	v_add_nc_u32_e32 v6, -8, v2
	ds_load_b32 v6, v6
	s_wait_dscnt 0x0
	v_add_nc_u32_e32 v3, v6, v3
.LBB50_14:
	s_or_b32 exec_lo, exec_lo, s3
.LBB50_15:
	s_delay_alu instid0(SALU_CYCLE_1) | instskip(NEXT) | instid1(SALU_CYCLE_1)
	s_or_b32 exec_lo, exec_lo, s2
	s_mov_b32 s2, exec_lo
	s_barrier_signal -1
	s_barrier_wait -1
	ds_store_b32 v2, v3
	s_wait_dscnt 0x0
	s_barrier_signal -1
	s_barrier_wait -1
	v_cmpx_lt_u32_e32 3, v0
	s_cbranch_execz .LBB50_19
; %bb.16:
	v_subrev_nc_u32_e32 v6, 32, v1
	s_mov_b32 s3, exec_lo
	ds_load_b64 v[6:7], v6
	s_wait_dscnt 0x0
	v_cmpx_eq_u64_e64 v[4:5], v[6:7]
	s_cbranch_execz .LBB50_18
; %bb.17:
	v_add_nc_u32_e32 v6, -16, v2
	ds_load_b32 v6, v6
	s_wait_dscnt 0x0
	v_add_nc_u32_e32 v3, v6, v3
.LBB50_18:
	s_or_b32 exec_lo, exec_lo, s3
.LBB50_19:
	s_delay_alu instid0(SALU_CYCLE_1) | instskip(NEXT) | instid1(SALU_CYCLE_1)
	s_or_b32 exec_lo, exec_lo, s2
	s_mov_b32 s2, exec_lo
	s_barrier_signal -1
	s_barrier_wait -1
	ds_store_b32 v2, v3
	s_wait_dscnt 0x0
	s_barrier_signal -1
	s_barrier_wait -1
	v_cmpx_lt_u32_e32 7, v0
	s_cbranch_execz .LBB50_23
; %bb.20:
	v_subrev_nc_u32_e32 v6, 64, v1
	s_mov_b32 s3, exec_lo
	ds_load_b64 v[6:7], v6
	s_wait_dscnt 0x0
	v_cmpx_eq_u64_e64 v[4:5], v[6:7]
	s_cbranch_execz .LBB50_22
; %bb.21:
	v_subrev_nc_u32_e32 v6, 32, v2
	ds_load_b32 v6, v6
	s_wait_dscnt 0x0
	v_add_nc_u32_e32 v3, v6, v3
.LBB50_22:
	s_or_b32 exec_lo, exec_lo, s3
.LBB50_23:
	s_delay_alu instid0(SALU_CYCLE_1) | instskip(NEXT) | instid1(SALU_CYCLE_1)
	s_or_b32 exec_lo, exec_lo, s2
	s_mov_b32 s2, exec_lo
	s_barrier_signal -1
	s_barrier_wait -1
	ds_store_b32 v2, v3
	s_wait_dscnt 0x0
	s_barrier_signal -1
	s_barrier_wait -1
	v_cmpx_lt_u32_e32 15, v0
	s_cbranch_execz .LBB50_27
; %bb.24:
	v_add_nc_u32_e32 v6, 0xffffff80, v1
	s_mov_b32 s3, exec_lo
	ds_load_b64 v[6:7], v6
	s_wait_dscnt 0x0
	v_cmpx_eq_u64_e64 v[4:5], v[6:7]
	s_cbranch_execz .LBB50_26
; %bb.25:
	v_subrev_nc_u32_e32 v6, 64, v2
	ds_load_b32 v6, v6
	s_wait_dscnt 0x0
	v_add_nc_u32_e32 v3, v6, v3
.LBB50_26:
	s_or_b32 exec_lo, exec_lo, s3
.LBB50_27:
	s_delay_alu instid0(SALU_CYCLE_1) | instskip(NEXT) | instid1(SALU_CYCLE_1)
	s_or_b32 exec_lo, exec_lo, s2
	s_mov_b32 s2, exec_lo
	s_barrier_signal -1
	s_barrier_wait -1
	ds_store_b32 v2, v3
	s_wait_dscnt 0x0
	s_barrier_signal -1
	s_barrier_wait -1
	v_cmpx_lt_u32_e32 31, v0
	s_cbranch_execz .LBB50_31
; %bb.28:
	v_add_nc_u32_e32 v6, 0xffffff00, v1
	s_mov_b32 s3, exec_lo
	ds_load_b64 v[6:7], v6
	s_wait_dscnt 0x0
	v_cmpx_eq_u64_e64 v[4:5], v[6:7]
	s_cbranch_execz .LBB50_30
; %bb.29:
	v_add_nc_u32_e32 v6, 0xffffff80, v2
	ds_load_b32 v6, v6
	s_wait_dscnt 0x0
	v_add_nc_u32_e32 v3, v6, v3
.LBB50_30:
	s_or_b32 exec_lo, exec_lo, s3
.LBB50_31:
	s_delay_alu instid0(SALU_CYCLE_1) | instskip(NEXT) | instid1(SALU_CYCLE_1)
	s_or_b32 exec_lo, exec_lo, s2
	s_mov_b32 s2, exec_lo
	s_barrier_signal -1
	s_barrier_wait -1
	ds_store_b32 v2, v3
	s_wait_dscnt 0x0
	s_barrier_signal -1
	s_barrier_wait -1
	v_cmpx_lt_u32_e32 63, v0
	s_cbranch_execz .LBB50_35
; %bb.32:
	v_add_nc_u32_e32 v6, 0xfffffe00, v1
	s_mov_b32 s3, exec_lo
	ds_load_b64 v[6:7], v6
	s_wait_dscnt 0x0
	v_cmpx_eq_u64_e64 v[4:5], v[6:7]
	s_cbranch_execz .LBB50_34
; %bb.33:
	v_add_nc_u32_e32 v6, 0xffffff00, v2
	ds_load_b32 v6, v6
	s_wait_dscnt 0x0
	v_add_nc_u32_e32 v3, v6, v3
.LBB50_34:
	s_or_b32 exec_lo, exec_lo, s3
.LBB50_35:
	;; [unrolled: 26-line block ×3, first 2 shown]
	s_delay_alu instid0(SALU_CYCLE_1)
	s_or_b32 exec_lo, exec_lo, s2
	s_load_b64 s[2:3], s[0:1], 0x30
	s_wait_xcnt 0x0
	s_mov_b32 s1, exec_lo
	s_barrier_signal -1
	s_barrier_wait -1
	ds_store_b32 v2, v3
	s_wait_dscnt 0x0
	s_barrier_signal -1
	s_barrier_wait -1
	v_cmpx_gt_u32_e32 0xff, v0
	s_cbranch_execz .LBB50_42
; %bb.40:
	ds_load_b64 v[6:7], v1 offset:8
	v_cmp_lt_i64_e64 s0, -1, v[4:5]
	s_wait_dscnt 0x0
	v_cmp_ne_u64_e32 vcc_lo, v[4:5], v[6:7]
	s_and_b32 s0, s0, vcc_lo
	s_delay_alu instid0(SALU_CYCLE_1)
	s_and_b32 exec_lo, exec_lo, s0
	s_cbranch_execz .LBB50_42
; %bb.41:
	v_mul_lo_u32 v1, v3, s7
	s_wait_kmcnt 0x0
	v_lshl_add_u64 v[6:7], v[4:5], 2, s[2:3]
	global_atomic_add_u32 v[6:7], v1, off scope:SCOPE_DEV
.LBB50_42:
	s_wait_xcnt 0x0
	s_or_b32 exec_lo, exec_lo, s1
	v_cmp_lt_i64_e32 vcc_lo, -1, v[4:5]
	v_cmp_eq_u32_e64 s0, 0xff, v0
	s_and_b32 s0, s0, vcc_lo
	s_delay_alu instid0(SALU_CYCLE_1)
	s_and_saveexec_b32 s1, s0
	s_cbranch_execz .LBB50_44
; %bb.43:
	v_mul_lo_u32 v2, v3, s7
	s_wait_kmcnt 0x0
	v_lshl_add_u64 v[0:1], v[4:5], 2, s[2:3]
	global_atomic_add_u32 v[0:1], v2, off scope:SCOPE_DEV
.LBB50_44:
	s_endpgm
	.section	.rodata,"a",@progbits
	.p2align	6, 0x0
	.amdhsa_kernel _ZN9rocsparseL19coomvn_atomic_loopsILj256ELj1ElaaiiEEvlNS_24const_host_device_scalarIT5_EEPKT1_S6_PKT2_PKT3_PT4_21rocsparse_index_base_b
		.amdhsa_group_segment_fixed_size 3072
		.amdhsa_private_segment_fixed_size 0
		.amdhsa_kernarg_size 64
		.amdhsa_user_sgpr_count 2
		.amdhsa_user_sgpr_dispatch_ptr 0
		.amdhsa_user_sgpr_queue_ptr 0
		.amdhsa_user_sgpr_kernarg_segment_ptr 1
		.amdhsa_user_sgpr_dispatch_id 0
		.amdhsa_user_sgpr_kernarg_preload_length 0
		.amdhsa_user_sgpr_kernarg_preload_offset 0
		.amdhsa_user_sgpr_private_segment_size 0
		.amdhsa_wavefront_size32 1
		.amdhsa_uses_dynamic_stack 0
		.amdhsa_enable_private_segment 0
		.amdhsa_system_sgpr_workgroup_id_x 1
		.amdhsa_system_sgpr_workgroup_id_y 0
		.amdhsa_system_sgpr_workgroup_id_z 0
		.amdhsa_system_sgpr_workgroup_info 0
		.amdhsa_system_vgpr_workitem_id 0
		.amdhsa_next_free_vgpr 11
		.amdhsa_next_free_sgpr 16
		.amdhsa_named_barrier_count 0
		.amdhsa_reserve_vcc 1
		.amdhsa_float_round_mode_32 0
		.amdhsa_float_round_mode_16_64 0
		.amdhsa_float_denorm_mode_32 3
		.amdhsa_float_denorm_mode_16_64 3
		.amdhsa_fp16_overflow 0
		.amdhsa_memory_ordered 1
		.amdhsa_forward_progress 1
		.amdhsa_inst_pref_size 11
		.amdhsa_round_robin_scheduling 0
		.amdhsa_exception_fp_ieee_invalid_op 0
		.amdhsa_exception_fp_denorm_src 0
		.amdhsa_exception_fp_ieee_div_zero 0
		.amdhsa_exception_fp_ieee_overflow 0
		.amdhsa_exception_fp_ieee_underflow 0
		.amdhsa_exception_fp_ieee_inexact 0
		.amdhsa_exception_int_div_zero 0
	.end_amdhsa_kernel
	.section	.text._ZN9rocsparseL19coomvn_atomic_loopsILj256ELj1ElaaiiEEvlNS_24const_host_device_scalarIT5_EEPKT1_S6_PKT2_PKT3_PT4_21rocsparse_index_base_b,"axG",@progbits,_ZN9rocsparseL19coomvn_atomic_loopsILj256ELj1ElaaiiEEvlNS_24const_host_device_scalarIT5_EEPKT1_S6_PKT2_PKT3_PT4_21rocsparse_index_base_b,comdat
.Lfunc_end50:
	.size	_ZN9rocsparseL19coomvn_atomic_loopsILj256ELj1ElaaiiEEvlNS_24const_host_device_scalarIT5_EEPKT1_S6_PKT2_PKT3_PT4_21rocsparse_index_base_b, .Lfunc_end50-_ZN9rocsparseL19coomvn_atomic_loopsILj256ELj1ElaaiiEEvlNS_24const_host_device_scalarIT5_EEPKT1_S6_PKT2_PKT3_PT4_21rocsparse_index_base_b
                                        ; -- End function
	.set _ZN9rocsparseL19coomvn_atomic_loopsILj256ELj1ElaaiiEEvlNS_24const_host_device_scalarIT5_EEPKT1_S6_PKT2_PKT3_PT4_21rocsparse_index_base_b.num_vgpr, 11
	.set _ZN9rocsparseL19coomvn_atomic_loopsILj256ELj1ElaaiiEEvlNS_24const_host_device_scalarIT5_EEPKT1_S6_PKT2_PKT3_PT4_21rocsparse_index_base_b.num_agpr, 0
	.set _ZN9rocsparseL19coomvn_atomic_loopsILj256ELj1ElaaiiEEvlNS_24const_host_device_scalarIT5_EEPKT1_S6_PKT2_PKT3_PT4_21rocsparse_index_base_b.numbered_sgpr, 16
	.set _ZN9rocsparseL19coomvn_atomic_loopsILj256ELj1ElaaiiEEvlNS_24const_host_device_scalarIT5_EEPKT1_S6_PKT2_PKT3_PT4_21rocsparse_index_base_b.num_named_barrier, 0
	.set _ZN9rocsparseL19coomvn_atomic_loopsILj256ELj1ElaaiiEEvlNS_24const_host_device_scalarIT5_EEPKT1_S6_PKT2_PKT3_PT4_21rocsparse_index_base_b.private_seg_size, 0
	.set _ZN9rocsparseL19coomvn_atomic_loopsILj256ELj1ElaaiiEEvlNS_24const_host_device_scalarIT5_EEPKT1_S6_PKT2_PKT3_PT4_21rocsparse_index_base_b.uses_vcc, 1
	.set _ZN9rocsparseL19coomvn_atomic_loopsILj256ELj1ElaaiiEEvlNS_24const_host_device_scalarIT5_EEPKT1_S6_PKT2_PKT3_PT4_21rocsparse_index_base_b.uses_flat_scratch, 0
	.set _ZN9rocsparseL19coomvn_atomic_loopsILj256ELj1ElaaiiEEvlNS_24const_host_device_scalarIT5_EEPKT1_S6_PKT2_PKT3_PT4_21rocsparse_index_base_b.has_dyn_sized_stack, 0
	.set _ZN9rocsparseL19coomvn_atomic_loopsILj256ELj1ElaaiiEEvlNS_24const_host_device_scalarIT5_EEPKT1_S6_PKT2_PKT3_PT4_21rocsparse_index_base_b.has_recursion, 0
	.set _ZN9rocsparseL19coomvn_atomic_loopsILj256ELj1ElaaiiEEvlNS_24const_host_device_scalarIT5_EEPKT1_S6_PKT2_PKT3_PT4_21rocsparse_index_base_b.has_indirect_call, 0
	.section	.AMDGPU.csdata,"",@progbits
; Kernel info:
; codeLenInByte = 1364
; TotalNumSgprs: 18
; NumVgprs: 11
; ScratchSize: 0
; MemoryBound: 0
; FloatMode: 240
; IeeeMode: 1
; LDSByteSize: 3072 bytes/workgroup (compile time only)
; SGPRBlocks: 0
; VGPRBlocks: 0
; NumSGPRsForWavesPerEU: 18
; NumVGPRsForWavesPerEU: 11
; NamedBarCnt: 0
; Occupancy: 16
; WaveLimiterHint : 1
; COMPUTE_PGM_RSRC2:SCRATCH_EN: 0
; COMPUTE_PGM_RSRC2:USER_SGPR: 2
; COMPUTE_PGM_RSRC2:TRAP_HANDLER: 0
; COMPUTE_PGM_RSRC2:TGID_X_EN: 1
; COMPUTE_PGM_RSRC2:TGID_Y_EN: 0
; COMPUTE_PGM_RSRC2:TGID_Z_EN: 0
; COMPUTE_PGM_RSRC2:TIDIG_COMP_CNT: 0
	.section	.text._ZN9rocsparseL19coomvn_atomic_loopsILj256ELj2ElaaiiEEvlNS_24const_host_device_scalarIT5_EEPKT1_S6_PKT2_PKT3_PT4_21rocsparse_index_base_b,"axG",@progbits,_ZN9rocsparseL19coomvn_atomic_loopsILj256ELj2ElaaiiEEvlNS_24const_host_device_scalarIT5_EEPKT1_S6_PKT2_PKT3_PT4_21rocsparse_index_base_b,comdat
	.globl	_ZN9rocsparseL19coomvn_atomic_loopsILj256ELj2ElaaiiEEvlNS_24const_host_device_scalarIT5_EEPKT1_S6_PKT2_PKT3_PT4_21rocsparse_index_base_b ; -- Begin function _ZN9rocsparseL19coomvn_atomic_loopsILj256ELj2ElaaiiEEvlNS_24const_host_device_scalarIT5_EEPKT1_S6_PKT2_PKT3_PT4_21rocsparse_index_base_b
	.p2align	8
	.type	_ZN9rocsparseL19coomvn_atomic_loopsILj256ELj2ElaaiiEEvlNS_24const_host_device_scalarIT5_EEPKT1_S6_PKT2_PKT3_PT4_21rocsparse_index_base_b,@function
_ZN9rocsparseL19coomvn_atomic_loopsILj256ELj2ElaaiiEEvlNS_24const_host_device_scalarIT5_EEPKT1_S6_PKT2_PKT3_PT4_21rocsparse_index_base_b: ; @_ZN9rocsparseL19coomvn_atomic_loopsILj256ELj2ElaaiiEEvlNS_24const_host_device_scalarIT5_EEPKT1_S6_PKT2_PKT3_PT4_21rocsparse_index_base_b
; %bb.0:
	s_clause 0x1
	s_load_b64 s[24:25], s[0:1], 0x38
	s_load_b128 s[20:23], s[0:1], 0x0
	s_mov_b32 s2, 0
	s_wait_kmcnt 0x0
	s_bitcmp0_b32 s25, 0
	s_cbranch_scc0 .LBB51_2
; %bb.1:
	s_load_b32 s11, s[22:23], 0x0
	s_and_not1_b32 vcc_lo, exec_lo, s2
	s_cbranch_vccz .LBB51_3
	s_branch .LBB51_4
.LBB51_2:
                                        ; implicit-def: $sgpr11
.LBB51_3:
	s_wait_kmcnt 0x0
	s_mov_b32 s11, s22
.LBB51_4:
	s_wait_kmcnt 0x0
	s_cmp_eq_u32 s11, 0
	s_cbranch_scc1 .LBB51_90
; %bb.5:
	s_load_b256 s[12:19], s[0:1], 0x10
	s_bfe_u32 s2, ttmp6, 0x4000c
	s_and_b32 s3, ttmp6, 15
	s_add_co_i32 s2, s2, 1
	s_getreg_b32 s4, hwreg(HW_REG_IB_STS2, 6, 4)
	s_mul_i32 s2, ttmp9, s2
	v_mov_b32_e32 v7, 0
	s_add_co_i32 s3, s3, s2
	s_cmp_eq_u32 s4, 0
	v_mov_b64_e32 v[8:9], -1
	s_cselect_b32 s2, ttmp9, s3
	v_mov_b32_e32 v19, v7
	v_lshl_or_b32 v6, s2, 9, v0
	s_mov_b32 s2, exec_lo
	s_delay_alu instid0(VALU_DEP_1)
	v_lshlrev_b64_e32 v[4:5], 3, v[6:7]
	s_wait_kmcnt 0x0
	v_add_nc_u64_e32 v[2:3], s[16:17], v[6:7]
	v_cmpx_gt_i64_e64 s[20:21], v[6:7]
	s_cbranch_execz .LBB51_7
; %bb.6:
	s_delay_alu instid0(VALU_DEP_3)
	v_add_nc_u64_e32 v[8:9], s[14:15], v[4:5]
	s_mov_b32 s25, 0
	v_add_nc_u64_e32 v[10:11], s[12:13], v[4:5]
	global_load_b64 v[8:9], v[8:9], off th:TH_LOAD_NT
	s_wait_loadcnt 0x0
	v_sub_nc_u64_e64 v[8:9], v[8:9], s[24:25]
	s_delay_alu instid0(VALU_DEP_1)
	v_add_nc_u64_e32 v[8:9], s[18:19], v[8:9]
	global_load_b64 v[12:13], v[10:11], off th:TH_LOAD_NT
	global_load_i8 v1, v[2:3], off th:TH_LOAD_NT
	global_load_i8 v14, v[8:9], off
	s_wait_loadcnt 0x2
	s_wait_xcnt 0x0
	v_sub_nc_u64_e64 v[8:9], v[12:13], s[24:25]
	s_wait_loadcnt 0x0
	v_mul_i32_i24_e32 v19, v14, v1
.LBB51_7:
	s_or_b32 exec_lo, exec_lo, s2
	v_dual_lshlrev_b32 v11, 2, v0 :: v_dual_lshlrev_b32 v1, 3, v0
	v_cmp_ne_u32_e64 s2, 0, v0
	v_cmp_eq_u32_e32 vcc_lo, 0, v0
	ds_store_b64 v1, v[8:9]
	ds_store_b32 v11, v19 offset:2048
	v_or_b32_e32 v10, 0x800, v11
	v_add_nc_u32_e32 v11, -8, v1
	s_wait_dscnt 0x0
	s_barrier_signal -1
	s_barrier_wait -1
	s_and_saveexec_b32 s4, s2
	s_cbranch_execz .LBB51_11
; %bb.8:
	ds_load_b64 v[12:13], v11
	s_mov_b32 s5, exec_lo
	s_wait_dscnt 0x0
	v_cmpx_eq_u64_e64 v[8:9], v[12:13]
	s_cbranch_execz .LBB51_10
; %bb.9:
	v_add_nc_u32_e32 v12, -4, v10
	ds_load_b32 v12, v12
	s_wait_dscnt 0x0
	v_add_nc_u32_e32 v19, v12, v19
.LBB51_10:
	s_or_b32 exec_lo, exec_lo, s5
.LBB51_11:
	s_delay_alu instid0(SALU_CYCLE_1)
	s_or_b32 exec_lo, exec_lo, s4
	v_cmp_lt_u32_e64 s3, 1, v0
	v_add_nc_u32_e32 v12, -16, v1
	s_barrier_signal -1
	s_barrier_wait -1
	ds_store_b32 v10, v19
	s_wait_dscnt 0x0
	s_barrier_signal -1
	s_barrier_wait -1
	s_and_saveexec_b32 s5, s3
	s_cbranch_execz .LBB51_15
; %bb.12:
	ds_load_b64 v[14:15], v12
	s_mov_b32 s6, exec_lo
	s_wait_dscnt 0x0
	v_cmpx_eq_u64_e64 v[8:9], v[14:15]
	s_cbranch_execz .LBB51_14
; %bb.13:
	v_add_nc_u32_e32 v13, -8, v10
	ds_load_b32 v13, v13
	s_wait_dscnt 0x0
	v_add_nc_u32_e32 v19, v13, v19
.LBB51_14:
	s_or_b32 exec_lo, exec_lo, s6
.LBB51_15:
	s_delay_alu instid0(SALU_CYCLE_1)
	s_or_b32 exec_lo, exec_lo, s5
	v_cmp_lt_u32_e64 s4, 3, v0
	v_subrev_nc_u32_e32 v13, 32, v1
	s_barrier_signal -1
	s_barrier_wait -1
	ds_store_b32 v10, v19
	s_wait_dscnt 0x0
	s_barrier_signal -1
	s_barrier_wait -1
	s_and_saveexec_b32 s6, s4
	s_cbranch_execz .LBB51_19
; %bb.16:
	ds_load_b64 v[14:15], v13
	s_mov_b32 s7, exec_lo
	s_wait_dscnt 0x0
	v_cmpx_eq_u64_e64 v[8:9], v[14:15]
	s_cbranch_execz .LBB51_18
; %bb.17:
	v_add_nc_u32_e32 v14, -16, v10
	ds_load_b32 v14, v14
	s_wait_dscnt 0x0
	v_add_nc_u32_e32 v19, v14, v19
.LBB51_18:
	s_or_b32 exec_lo, exec_lo, s7
.LBB51_19:
	s_delay_alu instid0(SALU_CYCLE_1)
	s_or_b32 exec_lo, exec_lo, s6
	v_cmp_lt_u32_e64 s5, 7, v0
	v_subrev_nc_u32_e32 v14, 64, v1
	s_barrier_signal -1
	s_barrier_wait -1
	ds_store_b32 v10, v19
	s_wait_dscnt 0x0
	s_barrier_signal -1
	s_barrier_wait -1
	s_and_saveexec_b32 s7, s5
	s_cbranch_execz .LBB51_23
; %bb.20:
	ds_load_b64 v[16:17], v14
	s_mov_b32 s8, exec_lo
	s_wait_dscnt 0x0
	v_cmpx_eq_u64_e64 v[8:9], v[16:17]
	s_cbranch_execz .LBB51_22
; %bb.21:
	v_subrev_nc_u32_e32 v15, 32, v10
	ds_load_b32 v15, v15
	s_wait_dscnt 0x0
	v_add_nc_u32_e32 v19, v15, v19
.LBB51_22:
	s_or_b32 exec_lo, exec_lo, s8
.LBB51_23:
	s_delay_alu instid0(SALU_CYCLE_1)
	s_or_b32 exec_lo, exec_lo, s7
	v_cmp_lt_u32_e64 s6, 15, v0
	v_add_nc_u32_e32 v15, 0xffffff80, v1
	s_barrier_signal -1
	s_barrier_wait -1
	ds_store_b32 v10, v19
	s_wait_dscnt 0x0
	s_barrier_signal -1
	s_barrier_wait -1
	s_and_saveexec_b32 s8, s6
	s_cbranch_execz .LBB51_27
; %bb.24:
	ds_load_b64 v[16:17], v15
	s_mov_b32 s9, exec_lo
	s_wait_dscnt 0x0
	v_cmpx_eq_u64_e64 v[8:9], v[16:17]
	s_cbranch_execz .LBB51_26
; %bb.25:
	v_subrev_nc_u32_e32 v16, 64, v10
	ds_load_b32 v16, v16
	s_wait_dscnt 0x0
	v_add_nc_u32_e32 v19, v16, v19
.LBB51_26:
	s_or_b32 exec_lo, exec_lo, s9
.LBB51_27:
	s_delay_alu instid0(SALU_CYCLE_1)
	s_or_b32 exec_lo, exec_lo, s8
	v_cmp_lt_u32_e64 s7, 31, v0
	v_add_nc_u32_e32 v16, 0xffffff00, v1
	s_barrier_signal -1
	s_barrier_wait -1
	ds_store_b32 v10, v19
	s_wait_dscnt 0x0
	s_barrier_signal -1
	s_barrier_wait -1
	s_and_saveexec_b32 s9, s7
	s_cbranch_execz .LBB51_31
; %bb.28:
	ds_load_b64 v[20:21], v16
	s_mov_b32 s10, exec_lo
	s_wait_dscnt 0x0
	v_cmpx_eq_u64_e64 v[8:9], v[20:21]
	s_cbranch_execz .LBB51_30
; %bb.29:
	v_add_nc_u32_e32 v17, 0xffffff80, v10
	ds_load_b32 v17, v17
	s_wait_dscnt 0x0
	v_add_nc_u32_e32 v19, v17, v19
.LBB51_30:
	s_or_b32 exec_lo, exec_lo, s10
.LBB51_31:
	s_delay_alu instid0(SALU_CYCLE_1)
	s_or_b32 exec_lo, exec_lo, s9
	v_cmp_lt_u32_e64 s8, 63, v0
	v_add_nc_u32_e32 v17, 0xfffffe00, v1
	s_barrier_signal -1
	s_barrier_wait -1
	ds_store_b32 v10, v19
	s_wait_dscnt 0x0
	s_barrier_signal -1
	s_barrier_wait -1
	s_and_saveexec_b32 s10, s8
	s_cbranch_execz .LBB51_35
; %bb.32:
	ds_load_b64 v[20:21], v17
	s_mov_b32 s16, exec_lo
	s_wait_dscnt 0x0
	v_cmpx_eq_u64_e64 v[8:9], v[20:21]
	s_cbranch_execz .LBB51_34
; %bb.33:
	v_add_nc_u32_e32 v18, 0xffffff00, v10
	ds_load_b32 v18, v18
	s_wait_dscnt 0x0
	v_add_nc_u32_e32 v19, v18, v19
.LBB51_34:
	s_or_b32 exec_lo, exec_lo, s16
.LBB51_35:
	;; [unrolled: 26-line block ×3, first 2 shown]
	s_delay_alu instid0(SALU_CYCLE_1)
	s_or_b32 exec_lo, exec_lo, s16
	s_load_b64 s[16:17], s[0:1], 0x30
	s_wait_xcnt 0x0
	v_cmp_gt_u32_e64 s0, 0xff, v0
	s_barrier_signal -1
	s_barrier_wait -1
	ds_store_b32 v10, v19
	s_wait_dscnt 0x0
	s_barrier_signal -1
	s_barrier_wait -1
	s_and_saveexec_b32 s22, s0
	s_cbranch_execz .LBB51_42
; %bb.40:
	ds_load_b64 v[20:21], v1 offset:8
	v_cmp_lt_i64_e64 s10, -1, v[8:9]
	s_wait_dscnt 0x0
	v_cmp_ne_u64_e64 s1, v[8:9], v[20:21]
	s_and_b32 s1, s10, s1
	s_delay_alu instid0(SALU_CYCLE_1)
	s_and_b32 exec_lo, exec_lo, s1
	s_cbranch_execz .LBB51_42
; %bb.41:
	v_mul_lo_u32 v19, v19, s11
	s_wait_kmcnt 0x0
	v_lshl_add_u64 v[8:9], v[8:9], 2, s[16:17]
	global_atomic_add_u32 v[8:9], v19, off scope:SCOPE_DEV
.LBB51_42:
	s_wait_xcnt 0x0
	s_or_b32 exec_lo, exec_lo, s22
	v_add_nc_u64_e32 v[6:7], 0x100, v[6:7]
	v_mov_b32_e32 v8, 0
	s_delay_alu instid0(VALU_DEP_2)
	v_cmp_gt_i64_e64 s1, s[20:21], v[6:7]
	v_mov_b64_e32 v[6:7], -1
	s_and_saveexec_b32 s10, s1
	s_cbranch_execz .LBB51_44
; %bb.43:
	v_add_nc_u64_e32 v[6:7], s[14:15], v[4:5]
	s_mov_b32 s25, 0
	v_add_nc_u64_e32 v[4:5], s[12:13], v[4:5]
	global_load_b64 v[6:7], v[6:7], off offset:2048 th:TH_LOAD_NT
	s_wait_loadcnt 0x0
	v_sub_nc_u64_e64 v[6:7], v[6:7], s[24:25]
	s_delay_alu instid0(VALU_DEP_1)
	v_add_nc_u64_e32 v[6:7], s[18:19], v[6:7]
	global_load_b64 v[8:9], v[4:5], off offset:2048 th:TH_LOAD_NT
	global_load_i8 v19, v[2:3], off offset:256 th:TH_LOAD_NT
	global_load_i8 v20, v[6:7], off
	s_wait_loadcnt 0x2
	s_wait_xcnt 0x0
	v_sub_nc_u64_e64 v[6:7], v[8:9], s[24:25]
	s_wait_loadcnt 0x0
	v_mul_i32_i24_e32 v8, v20, v19
.LBB51_44:
	s_or_b32 exec_lo, exec_lo, s10
	s_and_saveexec_b32 s1, vcc_lo
	s_cbranch_execz .LBB51_53
; %bb.45:
	v_mov_b32_e32 v2, 0
	s_mov_b32 s10, exec_lo
	ds_load_b64 v[2:3], v2 offset:2040
	s_wait_dscnt 0x0
	v_cmpx_ne_u64_e64 v[6:7], v[2:3]
	s_xor_b32 s10, exec_lo, s10
	s_cbranch_execz .LBB51_50
; %bb.46:
	v_cmp_gt_i64_e32 vcc_lo, 0, v[2:3]
	s_cbranch_vccnz .LBB51_50
; %bb.47:
	s_mov_b32 s13, exec_lo
	s_mov_b32 s12, exec_lo
	v_mbcnt_lo_u32_b32 v4, s13, 0
	s_delay_alu instid0(VALU_DEP_1)
	v_cmpx_eq_u32_e32 0, v4
	s_cbranch_execz .LBB51_49
; %bb.48:
	v_mov_b32_e32 v4, 0
	v_lshlrev_b64_e32 v[2:3], 2, v[2:3]
	s_bcnt1_i32_b32 s13, s13
	ds_load_b32 v4, v4 offset:3068
	s_wait_kmcnt 0x0
	v_add_nc_u64_e32 v[2:3], s[16:17], v[2:3]
	s_wait_dscnt 0x0
	v_mul_lo_u32 v4, v4, s11
	s_delay_alu instid0(VALU_DEP_1)
	v_mul_lo_u32 v4, v4, s13
	global_atomic_add_u32 v[2:3], v4, off scope:SCOPE_DEV
.LBB51_49:
	s_wait_xcnt 0x0
	s_or_b32 exec_lo, exec_lo, s12
.LBB51_50:
	s_and_not1_saveexec_b32 s10, s10
	s_cbranch_execz .LBB51_52
; %bb.51:
	v_mov_b32_e32 v2, 0
	ds_load_b32 v2, v2 offset:3068
	s_wait_dscnt 0x0
	v_add_nc_u32_e32 v8, v2, v8
.LBB51_52:
	s_or_b32 exec_lo, exec_lo, s10
.LBB51_53:
	s_delay_alu instid0(SALU_CYCLE_1)
	s_or_b32 exec_lo, exec_lo, s1
	s_wait_storecnt 0x0
	s_barrier_signal -1
	s_barrier_wait -1
	ds_store_b64 v1, v[6:7]
	ds_store_b32 v10, v8
	s_wait_dscnt 0x0
	s_barrier_signal -1
	s_barrier_wait -1
	s_and_saveexec_b32 s1, s2
	s_cbranch_execz .LBB51_57
; %bb.54:
	ds_load_b64 v[2:3], v11
	s_mov_b32 s2, exec_lo
	s_wait_dscnt 0x0
	v_cmpx_eq_u64_e64 v[6:7], v[2:3]
	s_cbranch_execz .LBB51_56
; %bb.55:
	v_add_nc_u32_e32 v2, -4, v10
	ds_load_b32 v2, v2
	s_wait_dscnt 0x0
	v_add_nc_u32_e32 v8, v2, v8
.LBB51_56:
	s_or_b32 exec_lo, exec_lo, s2
.LBB51_57:
	s_delay_alu instid0(SALU_CYCLE_1)
	s_or_b32 exec_lo, exec_lo, s1
	s_barrier_signal -1
	s_barrier_wait -1
	ds_store_b32 v10, v8
	s_wait_dscnt 0x0
	s_barrier_signal -1
	s_barrier_wait -1
	s_and_saveexec_b32 s1, s3
	s_cbranch_execz .LBB51_61
; %bb.58:
	ds_load_b64 v[2:3], v12
	s_mov_b32 s2, exec_lo
	s_wait_dscnt 0x0
	v_cmpx_eq_u64_e64 v[6:7], v[2:3]
	s_cbranch_execz .LBB51_60
; %bb.59:
	v_add_nc_u32_e32 v2, -8, v10
	ds_load_b32 v2, v2
	s_wait_dscnt 0x0
	v_add_nc_u32_e32 v8, v2, v8
.LBB51_60:
	s_or_b32 exec_lo, exec_lo, s2
.LBB51_61:
	s_delay_alu instid0(SALU_CYCLE_1)
	s_or_b32 exec_lo, exec_lo, s1
	s_barrier_signal -1
	s_barrier_wait -1
	;; [unrolled: 24-line block ×3, first 2 shown]
	ds_store_b32 v10, v8
	s_wait_dscnt 0x0
	s_barrier_signal -1
	s_barrier_wait -1
	s_and_saveexec_b32 s1, s5
	s_cbranch_execz .LBB51_69
; %bb.66:
	ds_load_b64 v[2:3], v14
	s_mov_b32 s2, exec_lo
	s_wait_dscnt 0x0
	v_cmpx_eq_u64_e64 v[6:7], v[2:3]
	s_cbranch_execz .LBB51_68
; %bb.67:
	v_subrev_nc_u32_e32 v2, 32, v10
	ds_load_b32 v2, v2
	s_wait_dscnt 0x0
	v_add_nc_u32_e32 v8, v2, v8
.LBB51_68:
	s_or_b32 exec_lo, exec_lo, s2
.LBB51_69:
	s_delay_alu instid0(SALU_CYCLE_1)
	s_or_b32 exec_lo, exec_lo, s1
	s_barrier_signal -1
	s_barrier_wait -1
	ds_store_b32 v10, v8
	s_wait_dscnt 0x0
	s_barrier_signal -1
	s_barrier_wait -1
	s_and_saveexec_b32 s1, s6
	s_cbranch_execz .LBB51_73
; %bb.70:
	ds_load_b64 v[2:3], v15
	s_mov_b32 s2, exec_lo
	s_wait_dscnt 0x0
	v_cmpx_eq_u64_e64 v[6:7], v[2:3]
	s_cbranch_execz .LBB51_72
; %bb.71:
	v_subrev_nc_u32_e32 v2, 64, v10
	ds_load_b32 v2, v2
	s_wait_dscnt 0x0
	v_add_nc_u32_e32 v8, v2, v8
.LBB51_72:
	s_or_b32 exec_lo, exec_lo, s2
.LBB51_73:
	s_delay_alu instid0(SALU_CYCLE_1)
	s_or_b32 exec_lo, exec_lo, s1
	s_barrier_signal -1
	s_barrier_wait -1
	ds_store_b32 v10, v8
	s_wait_dscnt 0x0
	s_barrier_signal -1
	s_barrier_wait -1
	s_and_saveexec_b32 s1, s7
	s_cbranch_execz .LBB51_77
; %bb.74:
	ds_load_b64 v[2:3], v16
	s_mov_b32 s2, exec_lo
	s_wait_dscnt 0x0
	v_cmpx_eq_u64_e64 v[6:7], v[2:3]
	s_cbranch_execz .LBB51_76
; %bb.75:
	v_add_nc_u32_e32 v2, 0xffffff80, v10
	ds_load_b32 v2, v2
	s_wait_dscnt 0x0
	v_add_nc_u32_e32 v8, v2, v8
.LBB51_76:
	s_or_b32 exec_lo, exec_lo, s2
.LBB51_77:
	s_delay_alu instid0(SALU_CYCLE_1)
	s_or_b32 exec_lo, exec_lo, s1
	s_barrier_signal -1
	s_barrier_wait -1
	ds_store_b32 v10, v8
	s_wait_dscnt 0x0
	s_barrier_signal -1
	s_barrier_wait -1
	s_and_saveexec_b32 s1, s8
	s_cbranch_execz .LBB51_81
; %bb.78:
	ds_load_b64 v[2:3], v17
	s_mov_b32 s2, exec_lo
	s_wait_dscnt 0x0
	v_cmpx_eq_u64_e64 v[6:7], v[2:3]
	s_cbranch_execz .LBB51_80
; %bb.79:
	v_add_nc_u32_e32 v2, 0xffffff00, v10
	ds_load_b32 v2, v2
	s_wait_dscnt 0x0
	v_add_nc_u32_e32 v8, v2, v8
.LBB51_80:
	s_or_b32 exec_lo, exec_lo, s2
.LBB51_81:
	;; [unrolled: 24-line block ×3, first 2 shown]
	s_delay_alu instid0(SALU_CYCLE_1)
	s_or_b32 exec_lo, exec_lo, s1
	s_barrier_signal -1
	s_barrier_wait -1
	ds_store_b32 v10, v8
	s_wait_dscnt 0x0
	s_barrier_signal -1
	s_barrier_wait -1
	s_and_saveexec_b32 s1, s0
	s_cbranch_execz .LBB51_88
; %bb.86:
	ds_load_b64 v[2:3], v1 offset:8
	v_cmp_lt_i64_e64 s0, -1, v[6:7]
	s_wait_dscnt 0x0
	v_cmp_ne_u64_e32 vcc_lo, v[6:7], v[2:3]
	s_and_b32 s0, s0, vcc_lo
	s_delay_alu instid0(SALU_CYCLE_1)
	s_and_b32 exec_lo, exec_lo, s0
	s_cbranch_execz .LBB51_88
; %bb.87:
	v_mul_lo_u32 v1, v8, s11
	s_wait_kmcnt 0x0
	v_lshl_add_u64 v[2:3], v[6:7], 2, s[16:17]
	global_atomic_add_u32 v[2:3], v1, off scope:SCOPE_DEV
.LBB51_88:
	s_wait_xcnt 0x0
	s_or_b32 exec_lo, exec_lo, s1
	v_cmp_lt_i64_e32 vcc_lo, -1, v[6:7]
	v_cmp_eq_u32_e64 s0, 0xff, v0
	s_and_b32 s0, s0, vcc_lo
	s_delay_alu instid0(SALU_CYCLE_1)
	s_and_saveexec_b32 s1, s0
	s_cbranch_execz .LBB51_90
; %bb.89:
	v_mul_lo_u32 v2, v8, s11
	s_wait_kmcnt 0x0
	v_lshl_add_u64 v[0:1], v[6:7], 2, s[16:17]
	global_atomic_add_u32 v[0:1], v2, off scope:SCOPE_DEV
.LBB51_90:
	s_endpgm
	.section	.rodata,"a",@progbits
	.p2align	6, 0x0
	.amdhsa_kernel _ZN9rocsparseL19coomvn_atomic_loopsILj256ELj2ElaaiiEEvlNS_24const_host_device_scalarIT5_EEPKT1_S6_PKT2_PKT3_PT4_21rocsparse_index_base_b
		.amdhsa_group_segment_fixed_size 3072
		.amdhsa_private_segment_fixed_size 0
		.amdhsa_kernarg_size 64
		.amdhsa_user_sgpr_count 2
		.amdhsa_user_sgpr_dispatch_ptr 0
		.amdhsa_user_sgpr_queue_ptr 0
		.amdhsa_user_sgpr_kernarg_segment_ptr 1
		.amdhsa_user_sgpr_dispatch_id 0
		.amdhsa_user_sgpr_kernarg_preload_length 0
		.amdhsa_user_sgpr_kernarg_preload_offset 0
		.amdhsa_user_sgpr_private_segment_size 0
		.amdhsa_wavefront_size32 1
		.amdhsa_uses_dynamic_stack 0
		.amdhsa_enable_private_segment 0
		.amdhsa_system_sgpr_workgroup_id_x 1
		.amdhsa_system_sgpr_workgroup_id_y 0
		.amdhsa_system_sgpr_workgroup_id_z 0
		.amdhsa_system_sgpr_workgroup_info 0
		.amdhsa_system_vgpr_workitem_id 0
		.amdhsa_next_free_vgpr 22
		.amdhsa_next_free_sgpr 26
		.amdhsa_named_barrier_count 0
		.amdhsa_reserve_vcc 1
		.amdhsa_float_round_mode_32 0
		.amdhsa_float_round_mode_16_64 0
		.amdhsa_float_denorm_mode_32 3
		.amdhsa_float_denorm_mode_16_64 3
		.amdhsa_fp16_overflow 0
		.amdhsa_memory_ordered 1
		.amdhsa_forward_progress 1
		.amdhsa_inst_pref_size 21
		.amdhsa_round_robin_scheduling 0
		.amdhsa_exception_fp_ieee_invalid_op 0
		.amdhsa_exception_fp_denorm_src 0
		.amdhsa_exception_fp_ieee_div_zero 0
		.amdhsa_exception_fp_ieee_overflow 0
		.amdhsa_exception_fp_ieee_underflow 0
		.amdhsa_exception_fp_ieee_inexact 0
		.amdhsa_exception_int_div_zero 0
	.end_amdhsa_kernel
	.section	.text._ZN9rocsparseL19coomvn_atomic_loopsILj256ELj2ElaaiiEEvlNS_24const_host_device_scalarIT5_EEPKT1_S6_PKT2_PKT3_PT4_21rocsparse_index_base_b,"axG",@progbits,_ZN9rocsparseL19coomvn_atomic_loopsILj256ELj2ElaaiiEEvlNS_24const_host_device_scalarIT5_EEPKT1_S6_PKT2_PKT3_PT4_21rocsparse_index_base_b,comdat
.Lfunc_end51:
	.size	_ZN9rocsparseL19coomvn_atomic_loopsILj256ELj2ElaaiiEEvlNS_24const_host_device_scalarIT5_EEPKT1_S6_PKT2_PKT3_PT4_21rocsparse_index_base_b, .Lfunc_end51-_ZN9rocsparseL19coomvn_atomic_loopsILj256ELj2ElaaiiEEvlNS_24const_host_device_scalarIT5_EEPKT1_S6_PKT2_PKT3_PT4_21rocsparse_index_base_b
                                        ; -- End function
	.set _ZN9rocsparseL19coomvn_atomic_loopsILj256ELj2ElaaiiEEvlNS_24const_host_device_scalarIT5_EEPKT1_S6_PKT2_PKT3_PT4_21rocsparse_index_base_b.num_vgpr, 22
	.set _ZN9rocsparseL19coomvn_atomic_loopsILj256ELj2ElaaiiEEvlNS_24const_host_device_scalarIT5_EEPKT1_S6_PKT2_PKT3_PT4_21rocsparse_index_base_b.num_agpr, 0
	.set _ZN9rocsparseL19coomvn_atomic_loopsILj256ELj2ElaaiiEEvlNS_24const_host_device_scalarIT5_EEPKT1_S6_PKT2_PKT3_PT4_21rocsparse_index_base_b.numbered_sgpr, 26
	.set _ZN9rocsparseL19coomvn_atomic_loopsILj256ELj2ElaaiiEEvlNS_24const_host_device_scalarIT5_EEPKT1_S6_PKT2_PKT3_PT4_21rocsparse_index_base_b.num_named_barrier, 0
	.set _ZN9rocsparseL19coomvn_atomic_loopsILj256ELj2ElaaiiEEvlNS_24const_host_device_scalarIT5_EEPKT1_S6_PKT2_PKT3_PT4_21rocsparse_index_base_b.private_seg_size, 0
	.set _ZN9rocsparseL19coomvn_atomic_loopsILj256ELj2ElaaiiEEvlNS_24const_host_device_scalarIT5_EEPKT1_S6_PKT2_PKT3_PT4_21rocsparse_index_base_b.uses_vcc, 1
	.set _ZN9rocsparseL19coomvn_atomic_loopsILj256ELj2ElaaiiEEvlNS_24const_host_device_scalarIT5_EEPKT1_S6_PKT2_PKT3_PT4_21rocsparse_index_base_b.uses_flat_scratch, 0
	.set _ZN9rocsparseL19coomvn_atomic_loopsILj256ELj2ElaaiiEEvlNS_24const_host_device_scalarIT5_EEPKT1_S6_PKT2_PKT3_PT4_21rocsparse_index_base_b.has_dyn_sized_stack, 0
	.set _ZN9rocsparseL19coomvn_atomic_loopsILj256ELj2ElaaiiEEvlNS_24const_host_device_scalarIT5_EEPKT1_S6_PKT2_PKT3_PT4_21rocsparse_index_base_b.has_recursion, 0
	.set _ZN9rocsparseL19coomvn_atomic_loopsILj256ELj2ElaaiiEEvlNS_24const_host_device_scalarIT5_EEPKT1_S6_PKT2_PKT3_PT4_21rocsparse_index_base_b.has_indirect_call, 0
	.section	.AMDGPU.csdata,"",@progbits
; Kernel info:
; codeLenInByte = 2660
; TotalNumSgprs: 28
; NumVgprs: 22
; ScratchSize: 0
; MemoryBound: 0
; FloatMode: 240
; IeeeMode: 1
; LDSByteSize: 3072 bytes/workgroup (compile time only)
; SGPRBlocks: 0
; VGPRBlocks: 1
; NumSGPRsForWavesPerEU: 28
; NumVGPRsForWavesPerEU: 22
; NamedBarCnt: 0
; Occupancy: 16
; WaveLimiterHint : 1
; COMPUTE_PGM_RSRC2:SCRATCH_EN: 0
; COMPUTE_PGM_RSRC2:USER_SGPR: 2
; COMPUTE_PGM_RSRC2:TRAP_HANDLER: 0
; COMPUTE_PGM_RSRC2:TGID_X_EN: 1
; COMPUTE_PGM_RSRC2:TGID_Y_EN: 0
; COMPUTE_PGM_RSRC2:TGID_Z_EN: 0
; COMPUTE_PGM_RSRC2:TIDIG_COMP_CNT: 0
	.section	.text._ZN9rocsparseL22coomvn_segmented_loopsILj256EiaaffEEvlT0_NS_24const_host_device_scalarIT4_EEPKS1_S6_PKT1_PKT2_PT3_PS1_PS3_21rocsparse_index_base_b,"axG",@progbits,_ZN9rocsparseL22coomvn_segmented_loopsILj256EiaaffEEvlT0_NS_24const_host_device_scalarIT4_EEPKS1_S6_PKT1_PKT2_PT3_PS1_PS3_21rocsparse_index_base_b,comdat
	.globl	_ZN9rocsparseL22coomvn_segmented_loopsILj256EiaaffEEvlT0_NS_24const_host_device_scalarIT4_EEPKS1_S6_PKT1_PKT2_PT3_PS1_PS3_21rocsparse_index_base_b ; -- Begin function _ZN9rocsparseL22coomvn_segmented_loopsILj256EiaaffEEvlT0_NS_24const_host_device_scalarIT4_EEPKS1_S6_PKT1_PKT2_PT3_PS1_PS3_21rocsparse_index_base_b
	.p2align	8
	.type	_ZN9rocsparseL22coomvn_segmented_loopsILj256EiaaffEEvlT0_NS_24const_host_device_scalarIT4_EEPKS1_S6_PKT1_PKT2_PT3_PS1_PS3_21rocsparse_index_base_b,@function
_ZN9rocsparseL22coomvn_segmented_loopsILj256EiaaffEEvlT0_NS_24const_host_device_scalarIT4_EEPKS1_S6_PKT1_PKT2_PT3_PS1_PS3_21rocsparse_index_base_b: ; @_ZN9rocsparseL22coomvn_segmented_loopsILj256EiaaffEEvlT0_NS_24const_host_device_scalarIT4_EEPKS1_S6_PKT1_PKT2_PT3_PS1_PS3_21rocsparse_index_base_b
; %bb.0:
	s_clause 0x1
	s_load_b64 s[30:31], s[0:1], 0x50
	s_load_b64 s[28:29], s[0:1], 0x10
	s_wait_kmcnt 0x0
	s_bitcmp1_b32 s31, 0
	s_cselect_b32 s2, -1, 0
	s_delay_alu instid0(SALU_CYCLE_1)
	s_and_b32 vcc_lo, exec_lo, s2
	s_cbranch_vccnz .LBB52_2
; %bb.1:
	s_load_b32 s28, s[28:29], 0x0
.LBB52_2:
	s_wait_kmcnt 0x0
	s_cmp_eq_f32 s28, 0
	s_cbranch_scc1 .LBB52_89
; %bb.3:
	s_clause 0x1
	s_load_b96 s[24:26], s[0:1], 0x0
	s_load_b256 s[16:23], s[0:1], 0x18
	s_bfe_u32 s2, ttmp6, 0x4000c
	s_and_b32 s3, ttmp6, 15
	s_add_co_i32 s2, s2, 1
	s_getreg_b32 s4, hwreg(HW_REG_IB_STS2, 6, 4)
	s_mul_i32 s2, ttmp9, s2
	v_dual_mov_b32 v3, 0 :: v_dual_mov_b32 v10, -1
	s_add_co_i32 s3, s3, s2
	s_cmp_eq_u32 s4, 0
	s_cselect_b32 s27, ttmp9, s3
	s_delay_alu instid0(VALU_DEP_1) | instskip(SKIP_2) | instid1(SALU_CYCLE_1)
	v_mov_b32_e32 v11, v3
	s_wait_kmcnt 0x0
	s_mul_i32 s2, s27, s26
	v_lshl_or_b32 v2, s2, 8, v0
	s_mov_b32 s2, exec_lo
	s_delay_alu instid0(VALU_DEP_1)
	v_cmpx_gt_i64_e64 s[24:25], v[2:3]
	s_cbranch_execz .LBB52_5
; %bb.4:
	v_lshlrev_b64_e32 v[4:5], 2, v[2:3]
	s_ashr_i32 s31, s30, 31
	v_add_nc_u64_e32 v[8:9], s[20:21], v[2:3]
	s_sub_nc_u64 s[4:5], 0, s[30:31]
	s_delay_alu instid0(VALU_DEP_2) | instskip(SKIP_4) | instid1(VALU_DEP_1)
	v_add_nc_u64_e32 v[6:7], s[18:19], v[4:5]
	v_add_nc_u64_e32 v[4:5], s[16:17], v[4:5]
	global_load_b32 v6, v[6:7], off th:TH_LOAD_NT
	s_wait_loadcnt 0x0
	v_ashrrev_i32_e32 v7, 31, v6
	v_add_nc_u64_e32 v[6:7], s[22:23], v[6:7]
	s_delay_alu instid0(VALU_DEP_1)
	v_add_nc_u64_e32 v[6:7], s[4:5], v[6:7]
	global_load_i8 v1, v[8:9], off th:TH_LOAD_NT
	global_load_i8 v10, v[6:7], off
	global_load_b32 v11, v[4:5], off th:TH_LOAD_NT
	s_wait_loadcnt 0x2
	v_cvt_f32_i32_e32 v1, v1
	s_wait_loadcnt 0x1
	s_wait_xcnt 0x0
	v_cvt_f32_i32_e32 v4, v10
	s_wait_loadcnt 0x0
	v_subrev_nc_u32_e32 v10, s30, v11
	s_delay_alu instid0(VALU_DEP_2)
	v_mul_f32_e32 v11, v1, v4
.LBB52_5:
	s_or_b32 exec_lo, exec_lo, s2
	v_lshlrev_b32_e32 v1, 2, v0
	v_cmp_eq_u32_e64 s2, 0, v0
	v_cmp_ne_u32_e64 s3, 0, v0
	s_delay_alu instid0(VALU_DEP_3)
	v_or_b32_e32 v8, 0x400, v1
	v_add_nc_u32_e32 v9, -4, v1
	ds_store_2addr_stride64_b32 v1, v10, v11 offset1:4
	s_wait_dscnt 0x0
	s_barrier_signal -1
	s_barrier_wait -1
	s_and_saveexec_b32 s4, s3
	s_cbranch_execz .LBB52_9
; %bb.6:
	ds_load_b32 v4, v9
	s_mov_b32 s5, exec_lo
	s_wait_dscnt 0x0
	v_cmpx_eq_u32_e64 v10, v4
	s_cbranch_execz .LBB52_8
; %bb.7:
	v_add_nc_u32_e32 v4, -4, v8
	ds_load_b32 v4, v4
	s_wait_dscnt 0x0
	v_add_f32_e32 v11, v11, v4
.LBB52_8:
	s_or_b32 exec_lo, exec_lo, s5
.LBB52_9:
	s_delay_alu instid0(SALU_CYCLE_1)
	s_or_b32 exec_lo, exec_lo, s4
	v_cmp_lt_u32_e64 s4, 1, v0
	v_add_nc_u32_e32 v12, -8, v1
	s_barrier_signal -1
	s_barrier_wait -1
	ds_store_b32 v8, v11
	s_wait_dscnt 0x0
	s_barrier_signal -1
	s_barrier_wait -1
	s_and_saveexec_b32 s5, s4
	s_cbranch_execz .LBB52_13
; %bb.10:
	ds_load_b32 v4, v12
	s_mov_b32 s6, exec_lo
	s_wait_dscnt 0x0
	v_cmpx_eq_u32_e64 v10, v4
	s_cbranch_execz .LBB52_12
; %bb.11:
	v_add_nc_u32_e32 v4, -8, v8
	ds_load_b32 v4, v4
	s_wait_dscnt 0x0
	v_add_f32_e32 v11, v11, v4
.LBB52_12:
	s_or_b32 exec_lo, exec_lo, s6
.LBB52_13:
	s_delay_alu instid0(SALU_CYCLE_1)
	s_or_b32 exec_lo, exec_lo, s5
	v_cmp_lt_u32_e64 s5, 3, v0
	v_add_nc_u32_e32 v13, -16, v1
	s_barrier_signal -1
	s_barrier_wait -1
	ds_store_b32 v8, v11
	s_wait_dscnt 0x0
	s_barrier_signal -1
	s_barrier_wait -1
	s_and_saveexec_b32 s6, s5
	s_cbranch_execz .LBB52_17
; %bb.14:
	ds_load_b32 v4, v13
	s_mov_b32 s7, exec_lo
	s_wait_dscnt 0x0
	v_cmpx_eq_u32_e64 v10, v4
	s_cbranch_execz .LBB52_16
; %bb.15:
	v_add_nc_u32_e32 v4, -16, v8
	ds_load_b32 v4, v4
	s_wait_dscnt 0x0
	v_add_f32_e32 v11, v11, v4
.LBB52_16:
	s_or_b32 exec_lo, exec_lo, s7
.LBB52_17:
	s_delay_alu instid0(SALU_CYCLE_1)
	s_or_b32 exec_lo, exec_lo, s6
	v_cmp_lt_u32_e64 s6, 7, v0
	v_subrev_nc_u32_e32 v14, 32, v1
	s_barrier_signal -1
	s_barrier_wait -1
	ds_store_b32 v8, v11
	s_wait_dscnt 0x0
	s_barrier_signal -1
	s_barrier_wait -1
	s_and_saveexec_b32 s7, s6
	s_cbranch_execz .LBB52_21
; %bb.18:
	ds_load_b32 v4, v14
	s_mov_b32 s8, exec_lo
	s_wait_dscnt 0x0
	v_cmpx_eq_u32_e64 v10, v4
	s_cbranch_execz .LBB52_20
; %bb.19:
	v_subrev_nc_u32_e32 v4, 32, v8
	ds_load_b32 v4, v4
	s_wait_dscnt 0x0
	v_add_f32_e32 v11, v11, v4
.LBB52_20:
	s_or_b32 exec_lo, exec_lo, s8
.LBB52_21:
	s_delay_alu instid0(SALU_CYCLE_1)
	s_or_b32 exec_lo, exec_lo, s7
	v_cmp_lt_u32_e64 s7, 15, v0
	v_subrev_nc_u32_e32 v15, 64, v1
	s_barrier_signal -1
	s_barrier_wait -1
	ds_store_b32 v8, v11
	s_wait_dscnt 0x0
	s_barrier_signal -1
	s_barrier_wait -1
	s_and_saveexec_b32 s8, s7
	s_cbranch_execz .LBB52_25
; %bb.22:
	ds_load_b32 v4, v15
	s_mov_b32 s9, exec_lo
	s_wait_dscnt 0x0
	v_cmpx_eq_u32_e64 v10, v4
	s_cbranch_execz .LBB52_24
; %bb.23:
	v_subrev_nc_u32_e32 v4, 64, v8
	ds_load_b32 v4, v4
	s_wait_dscnt 0x0
	v_add_f32_e32 v11, v11, v4
.LBB52_24:
	s_or_b32 exec_lo, exec_lo, s9
.LBB52_25:
	s_delay_alu instid0(SALU_CYCLE_1)
	s_or_b32 exec_lo, exec_lo, s8
	v_cmp_lt_u32_e64 s8, 31, v0
	v_add_nc_u32_e32 v16, 0xffffff80, v1
	s_barrier_signal -1
	s_barrier_wait -1
	ds_store_b32 v8, v11
	s_wait_dscnt 0x0
	s_barrier_signal -1
	s_barrier_wait -1
	s_and_saveexec_b32 s9, s8
	s_cbranch_execz .LBB52_29
; %bb.26:
	ds_load_b32 v4, v16
	s_mov_b32 s10, exec_lo
	s_wait_dscnt 0x0
	v_cmpx_eq_u32_e64 v10, v4
	s_cbranch_execz .LBB52_28
; %bb.27:
	v_add_nc_u32_e32 v4, 0xffffff80, v8
	ds_load_b32 v4, v4
	s_wait_dscnt 0x0
	v_add_f32_e32 v11, v11, v4
.LBB52_28:
	s_or_b32 exec_lo, exec_lo, s10
.LBB52_29:
	s_delay_alu instid0(SALU_CYCLE_1)
	s_or_b32 exec_lo, exec_lo, s9
	v_cmp_lt_u32_e64 s9, 63, v0
	v_add_nc_u32_e32 v17, 0xffffff00, v1
	s_barrier_signal -1
	s_barrier_wait -1
	ds_store_b32 v8, v11
	s_wait_dscnt 0x0
	s_barrier_signal -1
	s_barrier_wait -1
	s_and_saveexec_b32 s10, s9
	s_cbranch_execz .LBB52_33
; %bb.30:
	ds_load_b32 v4, v17
	s_mov_b32 s11, exec_lo
	s_wait_dscnt 0x0
	v_cmpx_eq_u32_e64 v10, v4
	s_cbranch_execz .LBB52_32
; %bb.31:
	v_add_nc_u32_e32 v4, 0xffffff00, v8
	ds_load_b32 v4, v4
	s_wait_dscnt 0x0
	v_add_f32_e32 v11, v11, v4
.LBB52_32:
	s_or_b32 exec_lo, exec_lo, s11
.LBB52_33:
	s_delay_alu instid0(SALU_CYCLE_1)
	s_or_b32 exec_lo, exec_lo, s10
	s_load_b64 s[34:35], s[0:1], 0x38
	v_cmp_lt_u32_e64 s10, 0x7f, v0
	v_add_nc_u32_e32 v18, 0xfffffe00, v1
	s_barrier_signal -1
	s_barrier_wait -1
	ds_store_b32 v8, v11
	s_wait_dscnt 0x0
	s_barrier_signal -1
	s_barrier_wait -1
	s_and_saveexec_b32 s11, s10
	s_cbranch_execz .LBB52_37
; %bb.34:
	ds_load_b32 v4, v18
	s_mov_b32 s12, exec_lo
	s_wait_dscnt 0x0
	v_cmpx_eq_u32_e64 v10, v4
	s_cbranch_execz .LBB52_36
; %bb.35:
	v_add_nc_u32_e32 v4, 0xfffffe00, v8
	ds_load_b32 v4, v4
	s_wait_dscnt 0x0
	v_add_f32_e32 v11, v11, v4
.LBB52_36:
	s_or_b32 exec_lo, exec_lo, s12
.LBB52_37:
	s_delay_alu instid0(SALU_CYCLE_1)
	s_or_b32 exec_lo, exec_lo, s11
	v_cmp_gt_u32_e64 s11, 0xff, v0
	s_barrier_signal -1
	s_barrier_wait -1
	ds_store_b32 v8, v11
	s_wait_dscnt 0x0
	s_barrier_signal -1
	s_barrier_wait -1
	s_and_saveexec_b32 s13, s11
	s_cbranch_execz .LBB52_40
; %bb.38:
	ds_load_b32 v4, v1 offset:4
	v_cmp_lt_i32_e64 s12, -1, v10
	s_wait_dscnt 0x0
	v_cmp_ne_u32_e32 vcc_lo, v10, v4
	s_and_b32 s12, s12, vcc_lo
	s_delay_alu instid0(SALU_CYCLE_1)
	s_and_b32 exec_lo, exec_lo, s12
	s_cbranch_execz .LBB52_40
; %bb.39:
	s_wait_kmcnt 0x0
	global_load_b32 v4, v10, s[34:35] scale_offset
	s_wait_loadcnt 0x0
	v_fmac_f32_e32 v4, s28, v11
	global_store_b32 v10, v4, s[34:35] scale_offset
.LBB52_40:
	s_wait_xcnt 0x0
	s_or_b32 exec_lo, exec_lo, s13
	s_load_b128 s[12:15], s[0:1], 0x40
	s_cmp_lt_i32 s26, 2
	s_cbranch_scc1 .LBB52_87
; %bb.41:
	v_lshl_add_u64 v[6:7], v[2:3], 2, 0x400
	v_add_nc_u64_e32 v[2:3], 0x100, v[2:3]
	s_ashr_i32 s31, s30, 31
	v_dual_add_nc_u32 v19, -4, v8 :: v_dual_add_nc_u32 v20, -8, v8
	s_delay_alu instid0(VALU_DEP_3)
	v_add_nc_u64_e32 v[4:5], s[18:19], v[6:7]
	v_add_nc_u64_e32 v[6:7], s[16:17], v[6:7]
	v_dual_add_nc_u32 v21, -16, v8 :: v_dual_mov_b32 v27, 0
	v_subrev_nc_u32_e32 v22, 32, v8
	v_subrev_nc_u32_e32 v23, 64, v8
	v_add_nc_u32_e32 v24, 0xffffff80, v8
	v_add_nc_u32_e32 v25, 0xffffff00, v8
	v_add_nc_u32_e32 v26, 0xfffffe00, v8
	s_wait_xcnt 0x0
	s_sub_nc_u64 s[0:1], 0, s[30:31]
	s_delay_alu instid0(SALU_CYCLE_1)
	s_add_nc_u64 s[16:17], s[22:23], s[0:1]
	s_add_co_i32 s1, s26, -1
	s_branch .LBB52_43
.LBB52_42:                              ;   in Loop: Header=BB52_43 Depth=1
	s_wait_xcnt 0x0
	s_or_b32 exec_lo, exec_lo, s18
	v_add_nc_u64_e32 v[4:5], 0x400, v[4:5]
	v_add_nc_u64_e32 v[2:3], 0x100, v[2:3]
	;; [unrolled: 1-line block ×3, first 2 shown]
	s_add_co_i32 s1, s1, -1
	s_delay_alu instid0(SALU_CYCLE_1)
	s_cmp_eq_u32 s1, 0
	s_cbranch_scc1 .LBB52_87
.LBB52_43:                              ; =>This Inner Loop Header: Depth=1
	v_dual_mov_b32 v10, -1 :: v_dual_mov_b32 v11, 0
	s_mov_b32 s0, exec_lo
	v_cmpx_gt_i64_e64 s[24:25], v[2:3]
	s_cbranch_execz .LBB52_45
; %bb.44:                               ;   in Loop: Header=BB52_43 Depth=1
	global_load_b32 v28, v[4:5], off th:TH_LOAD_NT
	v_add_nc_u64_e32 v[10:11], s[20:21], v[2:3]
	global_load_i8 v29, v[10:11], off th:TH_LOAD_NT
	s_wait_loadcnt 0x1
	global_load_i8 v30, v28, s[16:17]
	global_load_b32 v31, v[6:7], off th:TH_LOAD_NT
	s_wait_loadcnt 0x2
	s_wait_xcnt 0x2
	v_cvt_f32_i32_e32 v11, v29
	s_wait_loadcnt 0x1
	s_wait_xcnt 0x1
	v_cvt_f32_i32_e32 v28, v30
	s_wait_loadcnt 0x0
	v_subrev_nc_u32_e32 v10, s30, v31
	s_delay_alu instid0(VALU_DEP_2)
	v_mul_f32_e32 v11, v11, v28
.LBB52_45:                              ;   in Loop: Header=BB52_43 Depth=1
	s_wait_xcnt 0x0
	s_or_b32 exec_lo, exec_lo, s0
	s_and_saveexec_b32 s0, s2
	s_cbranch_execz .LBB52_52
; %bb.46:                               ;   in Loop: Header=BB52_43 Depth=1
	ds_load_b32 v28, v27 offset:1020
	s_mov_b32 s18, exec_lo
	s_wait_dscnt 0x0
	v_cmpx_ne_u32_e64 v10, v28
	s_xor_b32 s18, exec_lo, s18
	s_cbranch_execz .LBB52_49
; %bb.47:                               ;   in Loop: Header=BB52_43 Depth=1
	v_cmp_gt_i32_e32 vcc_lo, 0, v28
	s_cbranch_vccnz .LBB52_49
; %bb.48:                               ;   in Loop: Header=BB52_43 Depth=1
	s_wait_kmcnt 0x0
	global_load_b32 v29, v28, s[34:35] scale_offset
	ds_load_b32 v30, v27 offset:2044
	s_wait_loadcnt_dscnt 0x0
	v_fmac_f32_e32 v29, s28, v30
	global_store_b32 v28, v29, s[34:35] scale_offset
.LBB52_49:                              ;   in Loop: Header=BB52_43 Depth=1
	s_wait_xcnt 0x0
	s_and_not1_saveexec_b32 s18, s18
	s_cbranch_execz .LBB52_51
; %bb.50:                               ;   in Loop: Header=BB52_43 Depth=1
	ds_load_b32 v28, v27 offset:2044
	s_wait_dscnt 0x0
	v_add_f32_e32 v11, v11, v28
.LBB52_51:                              ;   in Loop: Header=BB52_43 Depth=1
	s_or_b32 exec_lo, exec_lo, s18
.LBB52_52:                              ;   in Loop: Header=BB52_43 Depth=1
	s_delay_alu instid0(SALU_CYCLE_1)
	s_or_b32 exec_lo, exec_lo, s0
	s_wait_storecnt 0x0
	s_barrier_signal -1
	s_barrier_wait -1
	ds_store_b32 v1, v10
	ds_store_b32 v8, v11
	s_wait_dscnt 0x0
	s_barrier_signal -1
	s_barrier_wait -1
	s_and_saveexec_b32 s0, s3
	s_cbranch_execz .LBB52_56
; %bb.53:                               ;   in Loop: Header=BB52_43 Depth=1
	ds_load_b32 v28, v9
	s_mov_b32 s18, exec_lo
	s_wait_dscnt 0x0
	v_cmpx_eq_u32_e64 v10, v28
	s_cbranch_execz .LBB52_55
; %bb.54:                               ;   in Loop: Header=BB52_43 Depth=1
	ds_load_b32 v28, v19
	s_wait_dscnt 0x0
	v_add_f32_e32 v11, v11, v28
.LBB52_55:                              ;   in Loop: Header=BB52_43 Depth=1
	s_or_b32 exec_lo, exec_lo, s18
.LBB52_56:                              ;   in Loop: Header=BB52_43 Depth=1
	s_delay_alu instid0(SALU_CYCLE_1)
	s_or_b32 exec_lo, exec_lo, s0
	s_barrier_signal -1
	s_barrier_wait -1
	ds_store_b32 v8, v11
	s_wait_dscnt 0x0
	s_barrier_signal -1
	s_barrier_wait -1
	s_and_saveexec_b32 s0, s4
	s_cbranch_execz .LBB52_60
; %bb.57:                               ;   in Loop: Header=BB52_43 Depth=1
	ds_load_b32 v28, v12
	s_mov_b32 s18, exec_lo
	s_wait_dscnt 0x0
	v_cmpx_eq_u32_e64 v10, v28
	s_cbranch_execz .LBB52_59
; %bb.58:                               ;   in Loop: Header=BB52_43 Depth=1
	ds_load_b32 v28, v20
	s_wait_dscnt 0x0
	v_add_f32_e32 v11, v11, v28
.LBB52_59:                              ;   in Loop: Header=BB52_43 Depth=1
	s_or_b32 exec_lo, exec_lo, s18
.LBB52_60:                              ;   in Loop: Header=BB52_43 Depth=1
	s_delay_alu instid0(SALU_CYCLE_1)
	s_or_b32 exec_lo, exec_lo, s0
	s_barrier_signal -1
	s_barrier_wait -1
	ds_store_b32 v8, v11
	s_wait_dscnt 0x0
	s_barrier_signal -1
	s_barrier_wait -1
	s_and_saveexec_b32 s0, s5
	s_cbranch_execz .LBB52_64
; %bb.61:                               ;   in Loop: Header=BB52_43 Depth=1
	ds_load_b32 v28, v13
	s_mov_b32 s18, exec_lo
	s_wait_dscnt 0x0
	v_cmpx_eq_u32_e64 v10, v28
	s_cbranch_execz .LBB52_63
; %bb.62:                               ;   in Loop: Header=BB52_43 Depth=1
	ds_load_b32 v28, v21
	s_wait_dscnt 0x0
	v_add_f32_e32 v11, v11, v28
.LBB52_63:                              ;   in Loop: Header=BB52_43 Depth=1
	s_or_b32 exec_lo, exec_lo, s18
.LBB52_64:                              ;   in Loop: Header=BB52_43 Depth=1
	s_delay_alu instid0(SALU_CYCLE_1)
	s_or_b32 exec_lo, exec_lo, s0
	s_barrier_signal -1
	s_barrier_wait -1
	ds_store_b32 v8, v11
	s_wait_dscnt 0x0
	s_barrier_signal -1
	s_barrier_wait -1
	s_and_saveexec_b32 s0, s6
	s_cbranch_execz .LBB52_68
; %bb.65:                               ;   in Loop: Header=BB52_43 Depth=1
	ds_load_b32 v28, v14
	s_mov_b32 s18, exec_lo
	s_wait_dscnt 0x0
	v_cmpx_eq_u32_e64 v10, v28
	s_cbranch_execz .LBB52_67
; %bb.66:                               ;   in Loop: Header=BB52_43 Depth=1
	ds_load_b32 v28, v22
	s_wait_dscnt 0x0
	v_add_f32_e32 v11, v11, v28
.LBB52_67:                              ;   in Loop: Header=BB52_43 Depth=1
	s_or_b32 exec_lo, exec_lo, s18
.LBB52_68:                              ;   in Loop: Header=BB52_43 Depth=1
	s_delay_alu instid0(SALU_CYCLE_1)
	s_or_b32 exec_lo, exec_lo, s0
	s_barrier_signal -1
	s_barrier_wait -1
	ds_store_b32 v8, v11
	s_wait_dscnt 0x0
	s_barrier_signal -1
	s_barrier_wait -1
	s_and_saveexec_b32 s0, s7
	s_cbranch_execz .LBB52_72
; %bb.69:                               ;   in Loop: Header=BB52_43 Depth=1
	ds_load_b32 v28, v15
	s_mov_b32 s18, exec_lo
	s_wait_dscnt 0x0
	v_cmpx_eq_u32_e64 v10, v28
	s_cbranch_execz .LBB52_71
; %bb.70:                               ;   in Loop: Header=BB52_43 Depth=1
	ds_load_b32 v28, v23
	s_wait_dscnt 0x0
	v_add_f32_e32 v11, v11, v28
.LBB52_71:                              ;   in Loop: Header=BB52_43 Depth=1
	s_or_b32 exec_lo, exec_lo, s18
.LBB52_72:                              ;   in Loop: Header=BB52_43 Depth=1
	s_delay_alu instid0(SALU_CYCLE_1)
	s_or_b32 exec_lo, exec_lo, s0
	s_barrier_signal -1
	s_barrier_wait -1
	ds_store_b32 v8, v11
	s_wait_dscnt 0x0
	s_barrier_signal -1
	s_barrier_wait -1
	s_and_saveexec_b32 s0, s8
	s_cbranch_execz .LBB52_76
; %bb.73:                               ;   in Loop: Header=BB52_43 Depth=1
	ds_load_b32 v28, v16
	s_mov_b32 s18, exec_lo
	s_wait_dscnt 0x0
	v_cmpx_eq_u32_e64 v10, v28
	s_cbranch_execz .LBB52_75
; %bb.74:                               ;   in Loop: Header=BB52_43 Depth=1
	ds_load_b32 v28, v24
	s_wait_dscnt 0x0
	v_add_f32_e32 v11, v11, v28
.LBB52_75:                              ;   in Loop: Header=BB52_43 Depth=1
	s_or_b32 exec_lo, exec_lo, s18
.LBB52_76:                              ;   in Loop: Header=BB52_43 Depth=1
	s_delay_alu instid0(SALU_CYCLE_1)
	s_or_b32 exec_lo, exec_lo, s0
	s_barrier_signal -1
	s_barrier_wait -1
	ds_store_b32 v8, v11
	s_wait_dscnt 0x0
	s_barrier_signal -1
	s_barrier_wait -1
	s_and_saveexec_b32 s0, s9
	s_cbranch_execz .LBB52_80
; %bb.77:                               ;   in Loop: Header=BB52_43 Depth=1
	ds_load_b32 v28, v17
	s_mov_b32 s18, exec_lo
	s_wait_dscnt 0x0
	v_cmpx_eq_u32_e64 v10, v28
	s_cbranch_execz .LBB52_79
; %bb.78:                               ;   in Loop: Header=BB52_43 Depth=1
	ds_load_b32 v28, v25
	s_wait_dscnt 0x0
	v_add_f32_e32 v11, v11, v28
.LBB52_79:                              ;   in Loop: Header=BB52_43 Depth=1
	s_or_b32 exec_lo, exec_lo, s18
.LBB52_80:                              ;   in Loop: Header=BB52_43 Depth=1
	s_delay_alu instid0(SALU_CYCLE_1)
	s_or_b32 exec_lo, exec_lo, s0
	s_barrier_signal -1
	s_barrier_wait -1
	ds_store_b32 v8, v11
	s_wait_dscnt 0x0
	s_barrier_signal -1
	s_barrier_wait -1
	s_and_saveexec_b32 s0, s10
	s_cbranch_execz .LBB52_84
; %bb.81:                               ;   in Loop: Header=BB52_43 Depth=1
	ds_load_b32 v28, v18
	s_mov_b32 s18, exec_lo
	s_wait_dscnt 0x0
	v_cmpx_eq_u32_e64 v10, v28
	s_cbranch_execz .LBB52_83
; %bb.82:                               ;   in Loop: Header=BB52_43 Depth=1
	ds_load_b32 v28, v26
	s_wait_dscnt 0x0
	v_add_f32_e32 v11, v11, v28
.LBB52_83:                              ;   in Loop: Header=BB52_43 Depth=1
	s_or_b32 exec_lo, exec_lo, s18
.LBB52_84:                              ;   in Loop: Header=BB52_43 Depth=1
	s_delay_alu instid0(SALU_CYCLE_1)
	s_or_b32 exec_lo, exec_lo, s0
	s_barrier_signal -1
	s_barrier_wait -1
	ds_store_b32 v8, v11
	s_wait_dscnt 0x0
	s_barrier_signal -1
	s_barrier_wait -1
	s_and_saveexec_b32 s18, s11
	s_cbranch_execz .LBB52_42
; %bb.85:                               ;   in Loop: Header=BB52_43 Depth=1
	ds_load_b32 v28, v1 offset:4
	v_cmp_lt_i32_e64 s0, -1, v10
	s_wait_dscnt 0x0
	v_cmp_ne_u32_e32 vcc_lo, v10, v28
	s_and_b32 s0, s0, vcc_lo
	s_delay_alu instid0(SALU_CYCLE_1)
	s_and_b32 exec_lo, exec_lo, s0
	s_cbranch_execz .LBB52_42
; %bb.86:                               ;   in Loop: Header=BB52_43 Depth=1
	s_wait_kmcnt 0x0
	global_load_b32 v28, v10, s[34:35] scale_offset
	s_wait_loadcnt 0x0
	v_fmac_f32_e32 v28, s28, v11
	global_store_b32 v10, v28, s[34:35] scale_offset
	s_branch .LBB52_42
.LBB52_87:
	s_wait_xcnt 0x0
	s_mov_b32 s0, exec_lo
	v_cmpx_eq_u32_e32 0xff, v0
	s_cbranch_execz .LBB52_89
; %bb.88:
	v_dual_mov_b32 v0, s27 :: v_dual_mul_f32 v1, s28, v11
	s_wait_kmcnt 0x0
	s_clause 0x1
	global_store_b32 v0, v10, s[12:13] scale_offset th:TH_STORE_NT
	global_store_b32 v0, v1, s[14:15] scale_offset th:TH_STORE_NT
.LBB52_89:
	s_endpgm
	.section	.rodata,"a",@progbits
	.p2align	6, 0x0
	.amdhsa_kernel _ZN9rocsparseL22coomvn_segmented_loopsILj256EiaaffEEvlT0_NS_24const_host_device_scalarIT4_EEPKS1_S6_PKT1_PKT2_PT3_PS1_PS3_21rocsparse_index_base_b
		.amdhsa_group_segment_fixed_size 2048
		.amdhsa_private_segment_fixed_size 0
		.amdhsa_kernarg_size 88
		.amdhsa_user_sgpr_count 2
		.amdhsa_user_sgpr_dispatch_ptr 0
		.amdhsa_user_sgpr_queue_ptr 0
		.amdhsa_user_sgpr_kernarg_segment_ptr 1
		.amdhsa_user_sgpr_dispatch_id 0
		.amdhsa_user_sgpr_kernarg_preload_length 0
		.amdhsa_user_sgpr_kernarg_preload_offset 0
		.amdhsa_user_sgpr_private_segment_size 0
		.amdhsa_wavefront_size32 1
		.amdhsa_uses_dynamic_stack 0
		.amdhsa_enable_private_segment 0
		.amdhsa_system_sgpr_workgroup_id_x 1
		.amdhsa_system_sgpr_workgroup_id_y 0
		.amdhsa_system_sgpr_workgroup_id_z 0
		.amdhsa_system_sgpr_workgroup_info 0
		.amdhsa_system_vgpr_workitem_id 0
		.amdhsa_next_free_vgpr 32
		.amdhsa_next_free_sgpr 36
		.amdhsa_named_barrier_count 0
		.amdhsa_reserve_vcc 1
		.amdhsa_float_round_mode_32 0
		.amdhsa_float_round_mode_16_64 0
		.amdhsa_float_denorm_mode_32 3
		.amdhsa_float_denorm_mode_16_64 3
		.amdhsa_fp16_overflow 0
		.amdhsa_memory_ordered 1
		.amdhsa_forward_progress 1
		.amdhsa_inst_pref_size 22
		.amdhsa_round_robin_scheduling 0
		.amdhsa_exception_fp_ieee_invalid_op 0
		.amdhsa_exception_fp_denorm_src 0
		.amdhsa_exception_fp_ieee_div_zero 0
		.amdhsa_exception_fp_ieee_overflow 0
		.amdhsa_exception_fp_ieee_underflow 0
		.amdhsa_exception_fp_ieee_inexact 0
		.amdhsa_exception_int_div_zero 0
	.end_amdhsa_kernel
	.section	.text._ZN9rocsparseL22coomvn_segmented_loopsILj256EiaaffEEvlT0_NS_24const_host_device_scalarIT4_EEPKS1_S6_PKT1_PKT2_PT3_PS1_PS3_21rocsparse_index_base_b,"axG",@progbits,_ZN9rocsparseL22coomvn_segmented_loopsILj256EiaaffEEvlT0_NS_24const_host_device_scalarIT4_EEPKS1_S6_PKT1_PKT2_PT3_PS1_PS3_21rocsparse_index_base_b,comdat
.Lfunc_end52:
	.size	_ZN9rocsparseL22coomvn_segmented_loopsILj256EiaaffEEvlT0_NS_24const_host_device_scalarIT4_EEPKS1_S6_PKT1_PKT2_PT3_PS1_PS3_21rocsparse_index_base_b, .Lfunc_end52-_ZN9rocsparseL22coomvn_segmented_loopsILj256EiaaffEEvlT0_NS_24const_host_device_scalarIT4_EEPKS1_S6_PKT1_PKT2_PT3_PS1_PS3_21rocsparse_index_base_b
                                        ; -- End function
	.set _ZN9rocsparseL22coomvn_segmented_loopsILj256EiaaffEEvlT0_NS_24const_host_device_scalarIT4_EEPKS1_S6_PKT1_PKT2_PT3_PS1_PS3_21rocsparse_index_base_b.num_vgpr, 32
	.set _ZN9rocsparseL22coomvn_segmented_loopsILj256EiaaffEEvlT0_NS_24const_host_device_scalarIT4_EEPKS1_S6_PKT1_PKT2_PT3_PS1_PS3_21rocsparse_index_base_b.num_agpr, 0
	.set _ZN9rocsparseL22coomvn_segmented_loopsILj256EiaaffEEvlT0_NS_24const_host_device_scalarIT4_EEPKS1_S6_PKT1_PKT2_PT3_PS1_PS3_21rocsparse_index_base_b.numbered_sgpr, 36
	.set _ZN9rocsparseL22coomvn_segmented_loopsILj256EiaaffEEvlT0_NS_24const_host_device_scalarIT4_EEPKS1_S6_PKT1_PKT2_PT3_PS1_PS3_21rocsparse_index_base_b.num_named_barrier, 0
	.set _ZN9rocsparseL22coomvn_segmented_loopsILj256EiaaffEEvlT0_NS_24const_host_device_scalarIT4_EEPKS1_S6_PKT1_PKT2_PT3_PS1_PS3_21rocsparse_index_base_b.private_seg_size, 0
	.set _ZN9rocsparseL22coomvn_segmented_loopsILj256EiaaffEEvlT0_NS_24const_host_device_scalarIT4_EEPKS1_S6_PKT1_PKT2_PT3_PS1_PS3_21rocsparse_index_base_b.uses_vcc, 1
	.set _ZN9rocsparseL22coomvn_segmented_loopsILj256EiaaffEEvlT0_NS_24const_host_device_scalarIT4_EEPKS1_S6_PKT1_PKT2_PT3_PS1_PS3_21rocsparse_index_base_b.uses_flat_scratch, 0
	.set _ZN9rocsparseL22coomvn_segmented_loopsILj256EiaaffEEvlT0_NS_24const_host_device_scalarIT4_EEPKS1_S6_PKT1_PKT2_PT3_PS1_PS3_21rocsparse_index_base_b.has_dyn_sized_stack, 0
	.set _ZN9rocsparseL22coomvn_segmented_loopsILj256EiaaffEEvlT0_NS_24const_host_device_scalarIT4_EEPKS1_S6_PKT1_PKT2_PT3_PS1_PS3_21rocsparse_index_base_b.has_recursion, 0
	.set _ZN9rocsparseL22coomvn_segmented_loopsILj256EiaaffEEvlT0_NS_24const_host_device_scalarIT4_EEPKS1_S6_PKT1_PKT2_PT3_PS1_PS3_21rocsparse_index_base_b.has_indirect_call, 0
	.section	.AMDGPU.csdata,"",@progbits
; Kernel info:
; codeLenInByte = 2724
; TotalNumSgprs: 38
; NumVgprs: 32
; ScratchSize: 0
; MemoryBound: 0
; FloatMode: 240
; IeeeMode: 1
; LDSByteSize: 2048 bytes/workgroup (compile time only)
; SGPRBlocks: 0
; VGPRBlocks: 1
; NumSGPRsForWavesPerEU: 38
; NumVGPRsForWavesPerEU: 32
; NamedBarCnt: 0
; Occupancy: 16
; WaveLimiterHint : 1
; COMPUTE_PGM_RSRC2:SCRATCH_EN: 0
; COMPUTE_PGM_RSRC2:USER_SGPR: 2
; COMPUTE_PGM_RSRC2:TRAP_HANDLER: 0
; COMPUTE_PGM_RSRC2:TGID_X_EN: 1
; COMPUTE_PGM_RSRC2:TGID_Y_EN: 0
; COMPUTE_PGM_RSRC2:TGID_Z_EN: 0
; COMPUTE_PGM_RSRC2:TIDIG_COMP_CNT: 0
	.section	.text._ZN9rocsparseL13coomvt_kernelILj1024EiaaffEEv20rocsparse_operation_lNS_24const_host_device_scalarIT4_EEPKT0_S7_PKT1_PKT2_PT3_21rocsparse_index_base_b,"axG",@progbits,_ZN9rocsparseL13coomvt_kernelILj1024EiaaffEEv20rocsparse_operation_lNS_24const_host_device_scalarIT4_EEPKT0_S7_PKT1_PKT2_PT3_21rocsparse_index_base_b,comdat
	.globl	_ZN9rocsparseL13coomvt_kernelILj1024EiaaffEEv20rocsparse_operation_lNS_24const_host_device_scalarIT4_EEPKT0_S7_PKT1_PKT2_PT3_21rocsparse_index_base_b ; -- Begin function _ZN9rocsparseL13coomvt_kernelILj1024EiaaffEEv20rocsparse_operation_lNS_24const_host_device_scalarIT4_EEPKT0_S7_PKT1_PKT2_PT3_21rocsparse_index_base_b
	.p2align	8
	.type	_ZN9rocsparseL13coomvt_kernelILj1024EiaaffEEv20rocsparse_operation_lNS_24const_host_device_scalarIT4_EEPKT0_S7_PKT1_PKT2_PT3_21rocsparse_index_base_b,@function
_ZN9rocsparseL13coomvt_kernelILj1024EiaaffEEv20rocsparse_operation_lNS_24const_host_device_scalarIT4_EEPKT0_S7_PKT1_PKT2_PT3_21rocsparse_index_base_b: ; @_ZN9rocsparseL13coomvt_kernelILj1024EiaaffEEv20rocsparse_operation_lNS_24const_host_device_scalarIT4_EEPKT0_S7_PKT1_PKT2_PT3_21rocsparse_index_base_b
; %bb.0:
	s_clause 0x1
	s_load_b64 s[2:3], s[0:1], 0x40
	s_load_b128 s[4:7], s[0:1], 0x8
	s_wait_kmcnt 0x0
	s_bitcmp1_b32 s3, 0
	s_cselect_b32 s3, -1, 0
	s_delay_alu instid0(SALU_CYCLE_1)
	s_and_b32 vcc_lo, exec_lo, s3
	s_cbranch_vccnz .LBB53_2
; %bb.1:
	s_load_b32 s6, s[6:7], 0x0
.LBB53_2:
	s_wait_kmcnt 0x0
	s_cmp_eq_f32 s6, 0
	s_cbranch_scc1 .LBB53_5
; %bb.3:
	s_load_b32 s3, s[0:1], 0x54
	s_bfe_u32 s7, ttmp6, 0x4000c
	s_and_b32 s8, ttmp6, 15
	s_add_co_i32 s7, s7, 1
	s_getreg_b32 s9, hwreg(HW_REG_IB_STS2, 6, 4)
	s_mul_i32 s7, ttmp9, s7
	v_mov_b32_e32 v1, 0
	s_add_co_i32 s8, s8, s7
	s_wait_kmcnt 0x0
	s_and_b32 s3, s3, 0xffff
	s_cmp_eq_u32 s9, 0
	s_cselect_b32 s7, ttmp9, s8
	s_delay_alu instid0(SALU_CYCLE_1) | instskip(SKIP_1) | instid1(VALU_DEP_1)
	v_mad_u32 v0, s7, s3, v0
	s_mov_b32 s3, exec_lo
	v_cmpx_gt_i64_e64 s[4:5], v[0:1]
	s_cbranch_execz .LBB53_5
; %bb.4:
	s_load_b256 s[8:15], s[0:1], 0x18
	v_lshlrev_b64_e32 v[2:3], 2, v[0:1]
	s_wait_xcnt 0x0
	s_load_b64 s[0:1], s[0:1], 0x38
	s_wait_kmcnt 0x0
	s_delay_alu instid0(VALU_DEP_1)
	v_add_nc_u64_e32 v[4:5], s[8:9], v[2:3]
	v_add_nc_u64_e32 v[0:1], s[12:13], v[0:1]
	global_load_b32 v4, v[4:5], off
	global_load_i8 v5, v[0:1], off
	s_wait_xcnt 0x0
	v_add_nc_u64_e32 v[0:1], s[10:11], v[2:3]
	s_wait_loadcnt 0x1
	v_subrev_nc_u32_e32 v4, s2, v4
	global_load_i8 v2, v4, s[14:15]
	global_load_b32 v3, v[0:1], off
	s_wait_loadcnt 0x2
	s_wait_xcnt 0x0
	v_cvt_f32_i32_e32 v0, v5
	s_delay_alu instid0(VALU_DEP_1) | instskip(SKIP_4) | instid1(VALU_DEP_2)
	v_mul_f32_e32 v0, s6, v0
	s_wait_loadcnt 0x1
	v_cvt_f32_i32_e32 v1, v2
	s_wait_loadcnt 0x0
	v_subrev_nc_u32_e32 v2, s2, v3
	v_mul_f32_e32 v0, v0, v1
	global_atomic_add_f32 v2, v0, s[0:1] scale_offset scope:SCOPE_DEV
.LBB53_5:
	s_endpgm
	.section	.rodata,"a",@progbits
	.p2align	6, 0x0
	.amdhsa_kernel _ZN9rocsparseL13coomvt_kernelILj1024EiaaffEEv20rocsparse_operation_lNS_24const_host_device_scalarIT4_EEPKT0_S7_PKT1_PKT2_PT3_21rocsparse_index_base_b
		.amdhsa_group_segment_fixed_size 0
		.amdhsa_private_segment_fixed_size 0
		.amdhsa_kernarg_size 328
		.amdhsa_user_sgpr_count 2
		.amdhsa_user_sgpr_dispatch_ptr 0
		.amdhsa_user_sgpr_queue_ptr 0
		.amdhsa_user_sgpr_kernarg_segment_ptr 1
		.amdhsa_user_sgpr_dispatch_id 0
		.amdhsa_user_sgpr_kernarg_preload_length 0
		.amdhsa_user_sgpr_kernarg_preload_offset 0
		.amdhsa_user_sgpr_private_segment_size 0
		.amdhsa_wavefront_size32 1
		.amdhsa_uses_dynamic_stack 0
		.amdhsa_enable_private_segment 0
		.amdhsa_system_sgpr_workgroup_id_x 1
		.amdhsa_system_sgpr_workgroup_id_y 0
		.amdhsa_system_sgpr_workgroup_id_z 0
		.amdhsa_system_sgpr_workgroup_info 0
		.amdhsa_system_vgpr_workitem_id 0
		.amdhsa_next_free_vgpr 6
		.amdhsa_next_free_sgpr 16
		.amdhsa_named_barrier_count 0
		.amdhsa_reserve_vcc 1
		.amdhsa_float_round_mode_32 0
		.amdhsa_float_round_mode_16_64 0
		.amdhsa_float_denorm_mode_32 3
		.amdhsa_float_denorm_mode_16_64 3
		.amdhsa_fp16_overflow 0
		.amdhsa_memory_ordered 1
		.amdhsa_forward_progress 1
		.amdhsa_inst_pref_size 3
		.amdhsa_round_robin_scheduling 0
		.amdhsa_exception_fp_ieee_invalid_op 0
		.amdhsa_exception_fp_denorm_src 0
		.amdhsa_exception_fp_ieee_div_zero 0
		.amdhsa_exception_fp_ieee_overflow 0
		.amdhsa_exception_fp_ieee_underflow 0
		.amdhsa_exception_fp_ieee_inexact 0
		.amdhsa_exception_int_div_zero 0
	.end_amdhsa_kernel
	.section	.text._ZN9rocsparseL13coomvt_kernelILj1024EiaaffEEv20rocsparse_operation_lNS_24const_host_device_scalarIT4_EEPKT0_S7_PKT1_PKT2_PT3_21rocsparse_index_base_b,"axG",@progbits,_ZN9rocsparseL13coomvt_kernelILj1024EiaaffEEv20rocsparse_operation_lNS_24const_host_device_scalarIT4_EEPKT0_S7_PKT1_PKT2_PT3_21rocsparse_index_base_b,comdat
.Lfunc_end53:
	.size	_ZN9rocsparseL13coomvt_kernelILj1024EiaaffEEv20rocsparse_operation_lNS_24const_host_device_scalarIT4_EEPKT0_S7_PKT1_PKT2_PT3_21rocsparse_index_base_b, .Lfunc_end53-_ZN9rocsparseL13coomvt_kernelILj1024EiaaffEEv20rocsparse_operation_lNS_24const_host_device_scalarIT4_EEPKT0_S7_PKT1_PKT2_PT3_21rocsparse_index_base_b
                                        ; -- End function
	.set _ZN9rocsparseL13coomvt_kernelILj1024EiaaffEEv20rocsparse_operation_lNS_24const_host_device_scalarIT4_EEPKT0_S7_PKT1_PKT2_PT3_21rocsparse_index_base_b.num_vgpr, 6
	.set _ZN9rocsparseL13coomvt_kernelILj1024EiaaffEEv20rocsparse_operation_lNS_24const_host_device_scalarIT4_EEPKT0_S7_PKT1_PKT2_PT3_21rocsparse_index_base_b.num_agpr, 0
	.set _ZN9rocsparseL13coomvt_kernelILj1024EiaaffEEv20rocsparse_operation_lNS_24const_host_device_scalarIT4_EEPKT0_S7_PKT1_PKT2_PT3_21rocsparse_index_base_b.numbered_sgpr, 16
	.set _ZN9rocsparseL13coomvt_kernelILj1024EiaaffEEv20rocsparse_operation_lNS_24const_host_device_scalarIT4_EEPKT0_S7_PKT1_PKT2_PT3_21rocsparse_index_base_b.num_named_barrier, 0
	.set _ZN9rocsparseL13coomvt_kernelILj1024EiaaffEEv20rocsparse_operation_lNS_24const_host_device_scalarIT4_EEPKT0_S7_PKT1_PKT2_PT3_21rocsparse_index_base_b.private_seg_size, 0
	.set _ZN9rocsparseL13coomvt_kernelILj1024EiaaffEEv20rocsparse_operation_lNS_24const_host_device_scalarIT4_EEPKT0_S7_PKT1_PKT2_PT3_21rocsparse_index_base_b.uses_vcc, 1
	.set _ZN9rocsparseL13coomvt_kernelILj1024EiaaffEEv20rocsparse_operation_lNS_24const_host_device_scalarIT4_EEPKT0_S7_PKT1_PKT2_PT3_21rocsparse_index_base_b.uses_flat_scratch, 0
	.set _ZN9rocsparseL13coomvt_kernelILj1024EiaaffEEv20rocsparse_operation_lNS_24const_host_device_scalarIT4_EEPKT0_S7_PKT1_PKT2_PT3_21rocsparse_index_base_b.has_dyn_sized_stack, 0
	.set _ZN9rocsparseL13coomvt_kernelILj1024EiaaffEEv20rocsparse_operation_lNS_24const_host_device_scalarIT4_EEPKT0_S7_PKT1_PKT2_PT3_21rocsparse_index_base_b.has_recursion, 0
	.set _ZN9rocsparseL13coomvt_kernelILj1024EiaaffEEv20rocsparse_operation_lNS_24const_host_device_scalarIT4_EEPKT0_S7_PKT1_PKT2_PT3_21rocsparse_index_base_b.has_indirect_call, 0
	.section	.AMDGPU.csdata,"",@progbits
; Kernel info:
; codeLenInByte = 312
; TotalNumSgprs: 18
; NumVgprs: 6
; ScratchSize: 0
; MemoryBound: 0
; FloatMode: 240
; IeeeMode: 1
; LDSByteSize: 0 bytes/workgroup (compile time only)
; SGPRBlocks: 0
; VGPRBlocks: 0
; NumSGPRsForWavesPerEU: 18
; NumVGPRsForWavesPerEU: 6
; NamedBarCnt: 0
; Occupancy: 16
; WaveLimiterHint : 1
; COMPUTE_PGM_RSRC2:SCRATCH_EN: 0
; COMPUTE_PGM_RSRC2:USER_SGPR: 2
; COMPUTE_PGM_RSRC2:TRAP_HANDLER: 0
; COMPUTE_PGM_RSRC2:TGID_X_EN: 1
; COMPUTE_PGM_RSRC2:TGID_Y_EN: 0
; COMPUTE_PGM_RSRC2:TGID_Z_EN: 0
; COMPUTE_PGM_RSRC2:TIDIG_COMP_CNT: 0
	.section	.text._ZN9rocsparseL19coomvn_atomic_loopsILj256ELj1EiaaffEEvlNS_24const_host_device_scalarIT5_EEPKT1_S6_PKT2_PKT3_PT4_21rocsparse_index_base_b,"axG",@progbits,_ZN9rocsparseL19coomvn_atomic_loopsILj256ELj1EiaaffEEvlNS_24const_host_device_scalarIT5_EEPKT1_S6_PKT2_PKT3_PT4_21rocsparse_index_base_b,comdat
	.globl	_ZN9rocsparseL19coomvn_atomic_loopsILj256ELj1EiaaffEEvlNS_24const_host_device_scalarIT5_EEPKT1_S6_PKT2_PKT3_PT4_21rocsparse_index_base_b ; -- Begin function _ZN9rocsparseL19coomvn_atomic_loopsILj256ELj1EiaaffEEvlNS_24const_host_device_scalarIT5_EEPKT1_S6_PKT2_PKT3_PT4_21rocsparse_index_base_b
	.p2align	8
	.type	_ZN9rocsparseL19coomvn_atomic_loopsILj256ELj1EiaaffEEvlNS_24const_host_device_scalarIT5_EEPKT1_S6_PKT2_PKT3_PT4_21rocsparse_index_base_b,@function
_ZN9rocsparseL19coomvn_atomic_loopsILj256ELj1EiaaffEEvlNS_24const_host_device_scalarIT5_EEPKT1_S6_PKT2_PKT3_PT4_21rocsparse_index_base_b: ; @_ZN9rocsparseL19coomvn_atomic_loopsILj256ELj1EiaaffEEvlNS_24const_host_device_scalarIT5_EEPKT1_S6_PKT2_PKT3_PT4_21rocsparse_index_base_b
; %bb.0:
	s_clause 0x1
	s_load_b64 s[2:3], s[0:1], 0x38
	s_load_b128 s[4:7], s[0:1], 0x0
	s_wait_kmcnt 0x0
	s_bitcmp1_b32 s3, 0
	s_cselect_b32 s3, -1, 0
	s_delay_alu instid0(SALU_CYCLE_1)
	s_and_b32 vcc_lo, exec_lo, s3
	s_cbranch_vccnz .LBB54_2
; %bb.1:
	s_load_b32 s6, s[6:7], 0x0
.LBB54_2:
	s_wait_kmcnt 0x0
	s_cmp_eq_f32 s6, 0
	s_cbranch_scc1 .LBB54_42
; %bb.3:
	s_bfe_u32 s3, ttmp6, 0x4000c
	s_and_b32 s7, ttmp6, 15
	s_add_co_i32 s3, s3, 1
	s_getreg_b32 s8, hwreg(HW_REG_IB_STS2, 6, 4)
	s_mul_i32 s3, ttmp9, s3
	v_dual_mov_b32 v3, 0 :: v_dual_mov_b32 v1, -1
	s_add_co_i32 s7, s7, s3
	s_cmp_eq_u32 s8, 0
	s_cselect_b32 s3, ttmp9, s7
	s_delay_alu instid0(SALU_CYCLE_1) | instskip(SKIP_1) | instid1(VALU_DEP_1)
	v_lshl_or_b32 v2, s3, 8, v0
	s_mov_b32 s3, exec_lo
	v_cmpx_gt_i64_e64 s[4:5], v[2:3]
	s_cbranch_execz .LBB54_5
; %bb.4:
	s_load_b256 s[8:15], s[0:1], 0x10
	v_lshlrev_b64_e32 v[4:5], 2, v[2:3]
	s_wait_kmcnt 0x0
	s_delay_alu instid0(VALU_DEP_1)
	v_add_nc_u64_e32 v[6:7], s[10:11], v[4:5]
	v_add_nc_u64_e32 v[2:3], s[12:13], v[2:3]
	;; [unrolled: 1-line block ×3, first 2 shown]
	global_load_b32 v1, v[6:7], off th:TH_LOAD_NT
	s_wait_loadcnt 0x0
	v_subrev_nc_u32_e32 v1, s2, v1
	global_load_i8 v6, v[2:3], off th:TH_LOAD_NT
	global_load_i8 v7, v1, s[14:15]
	global_load_b32 v8, v[4:5], off th:TH_LOAD_NT
	s_wait_loadcnt 0x2
	s_wait_xcnt 0x2
	v_cvt_f32_i32_e32 v2, v6
	s_wait_loadcnt 0x1
	v_cvt_f32_i32_e32 v3, v7
	s_wait_loadcnt 0x0
	v_subrev_nc_u32_e32 v1, s2, v8
	s_delay_alu instid0(VALU_DEP_2)
	v_mul_f32_e32 v3, v2, v3
.LBB54_5:
	s_or_b32 exec_lo, exec_lo, s3
	v_lshlrev_b32_e32 v2, 2, v0
	s_mov_b32 s2, exec_lo
	s_delay_alu instid0(VALU_DEP_1)
	v_or_b32_e32 v4, 0x400, v2
	ds_store_2addr_stride64_b32 v2, v1, v3 offset1:4
	s_wait_dscnt 0x0
	s_barrier_signal -1
	s_barrier_wait -1
	v_cmpx_ne_u32_e32 0, v0
	s_cbranch_execz .LBB54_9
; %bb.6:
	v_add_nc_u32_e32 v5, -4, v2
	s_mov_b32 s3, exec_lo
	ds_load_b32 v5, v5
	s_wait_dscnt 0x0
	v_cmpx_eq_u32_e64 v1, v5
	s_cbranch_execz .LBB54_8
; %bb.7:
	v_add_nc_u32_e32 v5, -4, v4
	ds_load_b32 v5, v5
	s_wait_dscnt 0x0
	v_add_f32_e32 v3, v3, v5
.LBB54_8:
	s_or_b32 exec_lo, exec_lo, s3
.LBB54_9:
	s_delay_alu instid0(SALU_CYCLE_1) | instskip(NEXT) | instid1(SALU_CYCLE_1)
	s_or_b32 exec_lo, exec_lo, s2
	s_mov_b32 s2, exec_lo
	s_barrier_signal -1
	s_barrier_wait -1
	ds_store_b32 v4, v3
	s_wait_dscnt 0x0
	s_barrier_signal -1
	s_barrier_wait -1
	v_cmpx_lt_u32_e32 1, v0
	s_cbranch_execz .LBB54_13
; %bb.10:
	v_add_nc_u32_e32 v5, -8, v2
	s_mov_b32 s3, exec_lo
	ds_load_b32 v5, v5
	s_wait_dscnt 0x0
	v_cmpx_eq_u32_e64 v1, v5
	s_cbranch_execz .LBB54_12
; %bb.11:
	v_add_nc_u32_e32 v5, -8, v4
	ds_load_b32 v5, v5
	s_wait_dscnt 0x0
	v_add_f32_e32 v3, v3, v5
.LBB54_12:
	s_or_b32 exec_lo, exec_lo, s3
.LBB54_13:
	s_delay_alu instid0(SALU_CYCLE_1) | instskip(NEXT) | instid1(SALU_CYCLE_1)
	s_or_b32 exec_lo, exec_lo, s2
	s_mov_b32 s2, exec_lo
	s_barrier_signal -1
	s_barrier_wait -1
	ds_store_b32 v4, v3
	s_wait_dscnt 0x0
	s_barrier_signal -1
	s_barrier_wait -1
	v_cmpx_lt_u32_e32 3, v0
	;; [unrolled: 26-line block ×3, first 2 shown]
	s_cbranch_execz .LBB54_21
; %bb.18:
	v_subrev_nc_u32_e32 v5, 32, v2
	s_mov_b32 s3, exec_lo
	ds_load_b32 v5, v5
	s_wait_dscnt 0x0
	v_cmpx_eq_u32_e64 v1, v5
	s_cbranch_execz .LBB54_20
; %bb.19:
	v_subrev_nc_u32_e32 v5, 32, v4
	ds_load_b32 v5, v5
	s_wait_dscnt 0x0
	v_add_f32_e32 v3, v3, v5
.LBB54_20:
	s_or_b32 exec_lo, exec_lo, s3
.LBB54_21:
	s_delay_alu instid0(SALU_CYCLE_1) | instskip(NEXT) | instid1(SALU_CYCLE_1)
	s_or_b32 exec_lo, exec_lo, s2
	s_mov_b32 s2, exec_lo
	s_barrier_signal -1
	s_barrier_wait -1
	ds_store_b32 v4, v3
	s_wait_dscnt 0x0
	s_barrier_signal -1
	s_barrier_wait -1
	v_cmpx_lt_u32_e32 15, v0
	s_cbranch_execz .LBB54_25
; %bb.22:
	v_subrev_nc_u32_e32 v5, 64, v2
	s_mov_b32 s3, exec_lo
	ds_load_b32 v5, v5
	s_wait_dscnt 0x0
	v_cmpx_eq_u32_e64 v1, v5
	s_cbranch_execz .LBB54_24
; %bb.23:
	v_subrev_nc_u32_e32 v5, 64, v4
	ds_load_b32 v5, v5
	s_wait_dscnt 0x0
	v_add_f32_e32 v3, v3, v5
.LBB54_24:
	s_or_b32 exec_lo, exec_lo, s3
.LBB54_25:
	s_delay_alu instid0(SALU_CYCLE_1) | instskip(NEXT) | instid1(SALU_CYCLE_1)
	s_or_b32 exec_lo, exec_lo, s2
	s_mov_b32 s2, exec_lo
	s_barrier_signal -1
	s_barrier_wait -1
	ds_store_b32 v4, v3
	s_wait_dscnt 0x0
	s_barrier_signal -1
	s_barrier_wait -1
	v_cmpx_lt_u32_e32 31, v0
	s_cbranch_execz .LBB54_29
; %bb.26:
	v_add_nc_u32_e32 v5, 0xffffff80, v2
	s_mov_b32 s3, exec_lo
	ds_load_b32 v5, v5
	s_wait_dscnt 0x0
	v_cmpx_eq_u32_e64 v1, v5
	s_cbranch_execz .LBB54_28
; %bb.27:
	v_add_nc_u32_e32 v5, 0xffffff80, v4
	ds_load_b32 v5, v5
	s_wait_dscnt 0x0
	v_add_f32_e32 v3, v3, v5
.LBB54_28:
	s_or_b32 exec_lo, exec_lo, s3
.LBB54_29:
	s_delay_alu instid0(SALU_CYCLE_1) | instskip(NEXT) | instid1(SALU_CYCLE_1)
	s_or_b32 exec_lo, exec_lo, s2
	s_mov_b32 s2, exec_lo
	s_barrier_signal -1
	s_barrier_wait -1
	ds_store_b32 v4, v3
	s_wait_dscnt 0x0
	s_barrier_signal -1
	s_barrier_wait -1
	v_cmpx_lt_u32_e32 63, v0
	s_cbranch_execz .LBB54_33
; %bb.30:
	v_add_nc_u32_e32 v5, 0xffffff00, v2
	s_mov_b32 s3, exec_lo
	ds_load_b32 v5, v5
	s_wait_dscnt 0x0
	v_cmpx_eq_u32_e64 v1, v5
	s_cbranch_execz .LBB54_32
; %bb.31:
	v_add_nc_u32_e32 v5, 0xffffff00, v4
	ds_load_b32 v5, v5
	s_wait_dscnt 0x0
	v_add_f32_e32 v3, v3, v5
.LBB54_32:
	s_or_b32 exec_lo, exec_lo, s3
.LBB54_33:
	s_delay_alu instid0(SALU_CYCLE_1)
	s_or_b32 exec_lo, exec_lo, s2
	s_load_b64 s[2:3], s[0:1], 0x30
	s_wait_xcnt 0x0
	s_mov_b32 s0, exec_lo
	s_barrier_signal -1
	s_barrier_wait -1
	ds_store_b32 v4, v3
	s_wait_dscnt 0x0
	s_barrier_signal -1
	s_barrier_wait -1
	v_cmpx_lt_u32_e32 0x7f, v0
	s_cbranch_execz .LBB54_37
; %bb.34:
	v_add_nc_u32_e32 v5, 0xfffffe00, v2
	s_mov_b32 s1, exec_lo
	ds_load_b32 v5, v5
	s_wait_dscnt 0x0
	v_cmpx_eq_u32_e64 v1, v5
	s_cbranch_execz .LBB54_36
; %bb.35:
	v_add_nc_u32_e32 v5, 0xfffffe00, v4
	ds_load_b32 v5, v5
	s_wait_dscnt 0x0
	v_add_f32_e32 v3, v3, v5
.LBB54_36:
	s_or_b32 exec_lo, exec_lo, s1
.LBB54_37:
	s_delay_alu instid0(SALU_CYCLE_1) | instskip(NEXT) | instid1(SALU_CYCLE_1)
	s_or_b32 exec_lo, exec_lo, s0
	s_mov_b32 s1, exec_lo
	s_barrier_signal -1
	s_barrier_wait -1
	ds_store_b32 v4, v3
	s_wait_dscnt 0x0
	s_barrier_signal -1
	s_barrier_wait -1
	v_cmpx_gt_u32_e32 0xff, v0
	s_cbranch_execz .LBB54_40
; %bb.38:
	ds_load_b32 v2, v2 offset:4
	v_cmp_lt_i32_e64 s0, -1, v1
	s_wait_dscnt 0x0
	v_cmp_ne_u32_e32 vcc_lo, v1, v2
	s_and_b32 s0, s0, vcc_lo
	s_delay_alu instid0(SALU_CYCLE_1)
	s_and_b32 exec_lo, exec_lo, s0
	s_cbranch_execz .LBB54_40
; %bb.39:
	v_mul_f32_e32 v2, s6, v3
	s_wait_kmcnt 0x0
	global_atomic_add_f32 v1, v2, s[2:3] scale_offset scope:SCOPE_DEV
.LBB54_40:
	s_wait_xcnt 0x0
	s_or_b32 exec_lo, exec_lo, s1
	v_cmp_eq_u32_e32 vcc_lo, 0xff, v0
	v_cmp_lt_i32_e64 s0, -1, v1
	s_and_b32 s0, vcc_lo, s0
	s_delay_alu instid0(SALU_CYCLE_1)
	s_and_saveexec_b32 s1, s0
	s_cbranch_execz .LBB54_42
; %bb.41:
	v_mul_f32_e32 v0, s6, v3
	s_wait_kmcnt 0x0
	global_atomic_add_f32 v1, v0, s[2:3] scale_offset scope:SCOPE_DEV
.LBB54_42:
	s_endpgm
	.section	.rodata,"a",@progbits
	.p2align	6, 0x0
	.amdhsa_kernel _ZN9rocsparseL19coomvn_atomic_loopsILj256ELj1EiaaffEEvlNS_24const_host_device_scalarIT5_EEPKT1_S6_PKT2_PKT3_PT4_21rocsparse_index_base_b
		.amdhsa_group_segment_fixed_size 2048
		.amdhsa_private_segment_fixed_size 0
		.amdhsa_kernarg_size 64
		.amdhsa_user_sgpr_count 2
		.amdhsa_user_sgpr_dispatch_ptr 0
		.amdhsa_user_sgpr_queue_ptr 0
		.amdhsa_user_sgpr_kernarg_segment_ptr 1
		.amdhsa_user_sgpr_dispatch_id 0
		.amdhsa_user_sgpr_kernarg_preload_length 0
		.amdhsa_user_sgpr_kernarg_preload_offset 0
		.amdhsa_user_sgpr_private_segment_size 0
		.amdhsa_wavefront_size32 1
		.amdhsa_uses_dynamic_stack 0
		.amdhsa_enable_private_segment 0
		.amdhsa_system_sgpr_workgroup_id_x 1
		.amdhsa_system_sgpr_workgroup_id_y 0
		.amdhsa_system_sgpr_workgroup_id_z 0
		.amdhsa_system_sgpr_workgroup_info 0
		.amdhsa_system_vgpr_workitem_id 0
		.amdhsa_next_free_vgpr 9
		.amdhsa_next_free_sgpr 16
		.amdhsa_named_barrier_count 0
		.amdhsa_reserve_vcc 1
		.amdhsa_float_round_mode_32 0
		.amdhsa_float_round_mode_16_64 0
		.amdhsa_float_denorm_mode_32 3
		.amdhsa_float_denorm_mode_16_64 3
		.amdhsa_fp16_overflow 0
		.amdhsa_memory_ordered 1
		.amdhsa_forward_progress 1
		.amdhsa_inst_pref_size 11
		.amdhsa_round_robin_scheduling 0
		.amdhsa_exception_fp_ieee_invalid_op 0
		.amdhsa_exception_fp_denorm_src 0
		.amdhsa_exception_fp_ieee_div_zero 0
		.amdhsa_exception_fp_ieee_overflow 0
		.amdhsa_exception_fp_ieee_underflow 0
		.amdhsa_exception_fp_ieee_inexact 0
		.amdhsa_exception_int_div_zero 0
	.end_amdhsa_kernel
	.section	.text._ZN9rocsparseL19coomvn_atomic_loopsILj256ELj1EiaaffEEvlNS_24const_host_device_scalarIT5_EEPKT1_S6_PKT2_PKT3_PT4_21rocsparse_index_base_b,"axG",@progbits,_ZN9rocsparseL19coomvn_atomic_loopsILj256ELj1EiaaffEEvlNS_24const_host_device_scalarIT5_EEPKT1_S6_PKT2_PKT3_PT4_21rocsparse_index_base_b,comdat
.Lfunc_end54:
	.size	_ZN9rocsparseL19coomvn_atomic_loopsILj256ELj1EiaaffEEvlNS_24const_host_device_scalarIT5_EEPKT1_S6_PKT2_PKT3_PT4_21rocsparse_index_base_b, .Lfunc_end54-_ZN9rocsparseL19coomvn_atomic_loopsILj256ELj1EiaaffEEvlNS_24const_host_device_scalarIT5_EEPKT1_S6_PKT2_PKT3_PT4_21rocsparse_index_base_b
                                        ; -- End function
	.set _ZN9rocsparseL19coomvn_atomic_loopsILj256ELj1EiaaffEEvlNS_24const_host_device_scalarIT5_EEPKT1_S6_PKT2_PKT3_PT4_21rocsparse_index_base_b.num_vgpr, 9
	.set _ZN9rocsparseL19coomvn_atomic_loopsILj256ELj1EiaaffEEvlNS_24const_host_device_scalarIT5_EEPKT1_S6_PKT2_PKT3_PT4_21rocsparse_index_base_b.num_agpr, 0
	.set _ZN9rocsparseL19coomvn_atomic_loopsILj256ELj1EiaaffEEvlNS_24const_host_device_scalarIT5_EEPKT1_S6_PKT2_PKT3_PT4_21rocsparse_index_base_b.numbered_sgpr, 16
	.set _ZN9rocsparseL19coomvn_atomic_loopsILj256ELj1EiaaffEEvlNS_24const_host_device_scalarIT5_EEPKT1_S6_PKT2_PKT3_PT4_21rocsparse_index_base_b.num_named_barrier, 0
	.set _ZN9rocsparseL19coomvn_atomic_loopsILj256ELj1EiaaffEEvlNS_24const_host_device_scalarIT5_EEPKT1_S6_PKT2_PKT3_PT4_21rocsparse_index_base_b.private_seg_size, 0
	.set _ZN9rocsparseL19coomvn_atomic_loopsILj256ELj1EiaaffEEvlNS_24const_host_device_scalarIT5_EEPKT1_S6_PKT2_PKT3_PT4_21rocsparse_index_base_b.uses_vcc, 1
	.set _ZN9rocsparseL19coomvn_atomic_loopsILj256ELj1EiaaffEEvlNS_24const_host_device_scalarIT5_EEPKT1_S6_PKT2_PKT3_PT4_21rocsparse_index_base_b.uses_flat_scratch, 0
	.set _ZN9rocsparseL19coomvn_atomic_loopsILj256ELj1EiaaffEEvlNS_24const_host_device_scalarIT5_EEPKT1_S6_PKT2_PKT3_PT4_21rocsparse_index_base_b.has_dyn_sized_stack, 0
	.set _ZN9rocsparseL19coomvn_atomic_loopsILj256ELj1EiaaffEEvlNS_24const_host_device_scalarIT5_EEPKT1_S6_PKT2_PKT3_PT4_21rocsparse_index_base_b.has_recursion, 0
	.set _ZN9rocsparseL19coomvn_atomic_loopsILj256ELj1EiaaffEEvlNS_24const_host_device_scalarIT5_EEPKT1_S6_PKT2_PKT3_PT4_21rocsparse_index_base_b.has_indirect_call, 0
	.section	.AMDGPU.csdata,"",@progbits
; Kernel info:
; codeLenInByte = 1316
; TotalNumSgprs: 18
; NumVgprs: 9
; ScratchSize: 0
; MemoryBound: 0
; FloatMode: 240
; IeeeMode: 1
; LDSByteSize: 2048 bytes/workgroup (compile time only)
; SGPRBlocks: 0
; VGPRBlocks: 0
; NumSGPRsForWavesPerEU: 18
; NumVGPRsForWavesPerEU: 9
; NamedBarCnt: 0
; Occupancy: 16
; WaveLimiterHint : 1
; COMPUTE_PGM_RSRC2:SCRATCH_EN: 0
; COMPUTE_PGM_RSRC2:USER_SGPR: 2
; COMPUTE_PGM_RSRC2:TRAP_HANDLER: 0
; COMPUTE_PGM_RSRC2:TGID_X_EN: 1
; COMPUTE_PGM_RSRC2:TGID_Y_EN: 0
; COMPUTE_PGM_RSRC2:TGID_Z_EN: 0
; COMPUTE_PGM_RSRC2:TIDIG_COMP_CNT: 0
	.section	.text._ZN9rocsparseL19coomvn_atomic_loopsILj256ELj2EiaaffEEvlNS_24const_host_device_scalarIT5_EEPKT1_S6_PKT2_PKT3_PT4_21rocsparse_index_base_b,"axG",@progbits,_ZN9rocsparseL19coomvn_atomic_loopsILj256ELj2EiaaffEEvlNS_24const_host_device_scalarIT5_EEPKT1_S6_PKT2_PKT3_PT4_21rocsparse_index_base_b,comdat
	.globl	_ZN9rocsparseL19coomvn_atomic_loopsILj256ELj2EiaaffEEvlNS_24const_host_device_scalarIT5_EEPKT1_S6_PKT2_PKT3_PT4_21rocsparse_index_base_b ; -- Begin function _ZN9rocsparseL19coomvn_atomic_loopsILj256ELj2EiaaffEEvlNS_24const_host_device_scalarIT5_EEPKT1_S6_PKT2_PKT3_PT4_21rocsparse_index_base_b
	.p2align	8
	.type	_ZN9rocsparseL19coomvn_atomic_loopsILj256ELj2EiaaffEEvlNS_24const_host_device_scalarIT5_EEPKT1_S6_PKT2_PKT3_PT4_21rocsparse_index_base_b,@function
_ZN9rocsparseL19coomvn_atomic_loopsILj256ELj2EiaaffEEvlNS_24const_host_device_scalarIT5_EEPKT1_S6_PKT2_PKT3_PT4_21rocsparse_index_base_b: ; @_ZN9rocsparseL19coomvn_atomic_loopsILj256ELj2EiaaffEEvlNS_24const_host_device_scalarIT5_EEPKT1_S6_PKT2_PKT3_PT4_21rocsparse_index_base_b
; %bb.0:
	s_clause 0x1
	s_load_b64 s[24:25], s[0:1], 0x38
	s_load_b128 s[20:23], s[0:1], 0x0
	s_wait_kmcnt 0x0
	s_bitcmp1_b32 s25, 0
	s_cselect_b32 s2, -1, 0
	s_delay_alu instid0(SALU_CYCLE_1)
	s_and_b32 vcc_lo, exec_lo, s2
	s_cbranch_vccnz .LBB55_2
; %bb.1:
	s_load_b32 s22, s[22:23], 0x0
.LBB55_2:
	s_wait_kmcnt 0x0
	s_cmp_eq_f32 s22, 0
	s_cbranch_scc1 .LBB55_88
; %bb.3:
	s_load_b256 s[12:19], s[0:1], 0x10
	s_bfe_u32 s2, ttmp6, 0x4000c
	s_and_b32 s3, ttmp6, 15
	s_add_co_i32 s2, s2, 1
	s_getreg_b32 s4, hwreg(HW_REG_IB_STS2, 6, 4)
	s_mul_i32 s2, ttmp9, s2
	v_dual_mov_b32 v7, 0 :: v_dual_mov_b32 v17, -1
	s_add_co_i32 s3, s3, s2
	s_cmp_eq_u32 s4, 0
	s_cselect_b32 s2, ttmp9, s3
	s_delay_alu instid0(VALU_DEP_1) | instskip(SKIP_2) | instid1(VALU_DEP_1)
	v_mov_b32_e32 v18, v7
	v_lshl_or_b32 v6, s2, 9, v0
	s_mov_b32 s2, exec_lo
	v_lshlrev_b64_e32 v[4:5], 2, v[6:7]
	s_wait_kmcnt 0x0
	v_add_nc_u64_e32 v[2:3], s[16:17], v[6:7]
	v_cmpx_gt_i64_e64 s[20:21], v[6:7]
	s_cbranch_execz .LBB55_5
; %bb.4:
	s_delay_alu instid0(VALU_DEP_3)
	v_add_nc_u64_e32 v[8:9], s[14:15], v[4:5]
	global_load_b32 v1, v[8:9], off th:TH_LOAD_NT
	s_wait_xcnt 0x0
	v_add_nc_u64_e32 v[8:9], s[12:13], v[4:5]
	s_wait_loadcnt 0x0
	v_subrev_nc_u32_e32 v1, s24, v1
	global_load_i8 v10, v[2:3], off th:TH_LOAD_NT
	global_load_i8 v11, v1, s[18:19]
	global_load_b32 v12, v[8:9], off th:TH_LOAD_NT
	s_wait_loadcnt 0x2
	s_wait_xcnt 0x1
	v_cvt_f32_i32_e32 v1, v10
	s_wait_loadcnt 0x1
	s_wait_xcnt 0x0
	v_cvt_f32_i32_e32 v8, v11
	s_wait_loadcnt 0x0
	v_subrev_nc_u32_e32 v17, s24, v12
	s_delay_alu instid0(VALU_DEP_2)
	v_mul_f32_e32 v18, v1, v8
.LBB55_5:
	s_or_b32 exec_lo, exec_lo, s2
	v_lshlrev_b32_e32 v1, 2, v0
	v_cmp_ne_u32_e64 s2, 0, v0
	v_cmp_eq_u32_e32 vcc_lo, 0, v0
	s_delay_alu instid0(VALU_DEP_3)
	v_or_b32_e32 v8, 0x400, v1
	v_add_nc_u32_e32 v9, -4, v1
	ds_store_2addr_stride64_b32 v1, v17, v18 offset1:4
	s_wait_dscnt 0x0
	s_barrier_signal -1
	s_barrier_wait -1
	s_and_saveexec_b32 s4, s2
	s_cbranch_execz .LBB55_9
; %bb.6:
	ds_load_b32 v10, v9
	s_mov_b32 s5, exec_lo
	s_wait_dscnt 0x0
	v_cmpx_eq_u32_e64 v17, v10
	s_cbranch_execz .LBB55_8
; %bb.7:
	v_add_nc_u32_e32 v10, -4, v8
	ds_load_b32 v10, v10
	s_wait_dscnt 0x0
	v_add_f32_e32 v18, v18, v10
.LBB55_8:
	s_or_b32 exec_lo, exec_lo, s5
.LBB55_9:
	s_delay_alu instid0(SALU_CYCLE_1)
	s_or_b32 exec_lo, exec_lo, s4
	v_cmp_lt_u32_e64 s3, 1, v0
	v_add_nc_u32_e32 v10, -8, v1
	s_barrier_signal -1
	s_barrier_wait -1
	ds_store_b32 v8, v18
	s_wait_dscnt 0x0
	s_barrier_signal -1
	s_barrier_wait -1
	s_and_saveexec_b32 s5, s3
	s_cbranch_execz .LBB55_13
; %bb.10:
	ds_load_b32 v11, v10
	s_mov_b32 s6, exec_lo
	s_wait_dscnt 0x0
	v_cmpx_eq_u32_e64 v17, v11
	s_cbranch_execz .LBB55_12
; %bb.11:
	v_add_nc_u32_e32 v11, -8, v8
	ds_load_b32 v11, v11
	s_wait_dscnt 0x0
	v_add_f32_e32 v18, v18, v11
.LBB55_12:
	s_or_b32 exec_lo, exec_lo, s6
.LBB55_13:
	s_delay_alu instid0(SALU_CYCLE_1)
	s_or_b32 exec_lo, exec_lo, s5
	v_cmp_lt_u32_e64 s4, 3, v0
	v_add_nc_u32_e32 v11, -16, v1
	s_barrier_signal -1
	s_barrier_wait -1
	ds_store_b32 v8, v18
	s_wait_dscnt 0x0
	s_barrier_signal -1
	s_barrier_wait -1
	s_and_saveexec_b32 s6, s4
	s_cbranch_execz .LBB55_17
; %bb.14:
	ds_load_b32 v12, v11
	s_mov_b32 s7, exec_lo
	s_wait_dscnt 0x0
	v_cmpx_eq_u32_e64 v17, v12
	s_cbranch_execz .LBB55_16
; %bb.15:
	v_add_nc_u32_e32 v12, -16, v8
	ds_load_b32 v12, v12
	s_wait_dscnt 0x0
	v_add_f32_e32 v18, v18, v12
.LBB55_16:
	s_or_b32 exec_lo, exec_lo, s7
.LBB55_17:
	s_delay_alu instid0(SALU_CYCLE_1)
	s_or_b32 exec_lo, exec_lo, s6
	v_cmp_lt_u32_e64 s5, 7, v0
	v_subrev_nc_u32_e32 v12, 32, v1
	s_barrier_signal -1
	s_barrier_wait -1
	ds_store_b32 v8, v18
	s_wait_dscnt 0x0
	s_barrier_signal -1
	s_barrier_wait -1
	s_and_saveexec_b32 s7, s5
	s_cbranch_execz .LBB55_21
; %bb.18:
	ds_load_b32 v13, v12
	s_mov_b32 s8, exec_lo
	s_wait_dscnt 0x0
	v_cmpx_eq_u32_e64 v17, v13
	s_cbranch_execz .LBB55_20
; %bb.19:
	v_subrev_nc_u32_e32 v13, 32, v8
	ds_load_b32 v13, v13
	s_wait_dscnt 0x0
	v_add_f32_e32 v18, v18, v13
.LBB55_20:
	s_or_b32 exec_lo, exec_lo, s8
.LBB55_21:
	s_delay_alu instid0(SALU_CYCLE_1)
	s_or_b32 exec_lo, exec_lo, s7
	v_cmp_lt_u32_e64 s6, 15, v0
	v_subrev_nc_u32_e32 v13, 64, v1
	s_barrier_signal -1
	s_barrier_wait -1
	ds_store_b32 v8, v18
	s_wait_dscnt 0x0
	s_barrier_signal -1
	s_barrier_wait -1
	s_and_saveexec_b32 s8, s6
	s_cbranch_execz .LBB55_25
; %bb.22:
	ds_load_b32 v14, v13
	s_mov_b32 s9, exec_lo
	s_wait_dscnt 0x0
	v_cmpx_eq_u32_e64 v17, v14
	s_cbranch_execz .LBB55_24
; %bb.23:
	v_subrev_nc_u32_e32 v14, 64, v8
	ds_load_b32 v14, v14
	s_wait_dscnt 0x0
	v_add_f32_e32 v18, v18, v14
.LBB55_24:
	s_or_b32 exec_lo, exec_lo, s9
.LBB55_25:
	s_delay_alu instid0(SALU_CYCLE_1)
	s_or_b32 exec_lo, exec_lo, s8
	v_cmp_lt_u32_e64 s7, 31, v0
	v_add_nc_u32_e32 v14, 0xffffff80, v1
	s_barrier_signal -1
	s_barrier_wait -1
	ds_store_b32 v8, v18
	s_wait_dscnt 0x0
	s_barrier_signal -1
	s_barrier_wait -1
	s_and_saveexec_b32 s9, s7
	s_cbranch_execz .LBB55_29
; %bb.26:
	ds_load_b32 v15, v14
	s_mov_b32 s10, exec_lo
	s_wait_dscnt 0x0
	v_cmpx_eq_u32_e64 v17, v15
	s_cbranch_execz .LBB55_28
; %bb.27:
	v_add_nc_u32_e32 v15, 0xffffff80, v8
	ds_load_b32 v15, v15
	s_wait_dscnt 0x0
	v_add_f32_e32 v18, v18, v15
.LBB55_28:
	s_or_b32 exec_lo, exec_lo, s10
.LBB55_29:
	s_delay_alu instid0(SALU_CYCLE_1)
	s_or_b32 exec_lo, exec_lo, s9
	v_cmp_lt_u32_e64 s8, 63, v0
	v_add_nc_u32_e32 v15, 0xffffff00, v1
	s_barrier_signal -1
	s_barrier_wait -1
	ds_store_b32 v8, v18
	s_wait_dscnt 0x0
	s_barrier_signal -1
	s_barrier_wait -1
	s_and_saveexec_b32 s10, s8
	s_cbranch_execz .LBB55_33
; %bb.30:
	ds_load_b32 v16, v15
	s_mov_b32 s11, exec_lo
	s_wait_dscnt 0x0
	v_cmpx_eq_u32_e64 v17, v16
	s_cbranch_execz .LBB55_32
; %bb.31:
	v_add_nc_u32_e32 v16, 0xffffff00, v8
	ds_load_b32 v16, v16
	s_wait_dscnt 0x0
	v_add_f32_e32 v18, v18, v16
.LBB55_32:
	s_or_b32 exec_lo, exec_lo, s11
.LBB55_33:
	s_delay_alu instid0(SALU_CYCLE_1)
	s_or_b32 exec_lo, exec_lo, s10
	s_load_b64 s[16:17], s[0:1], 0x30
	s_wait_xcnt 0x0
	v_cmp_lt_u32_e64 s0, 0x7f, v0
	v_add_nc_u32_e32 v16, 0xfffffe00, v1
	s_barrier_signal -1
	s_barrier_wait -1
	ds_store_b32 v8, v18
	s_wait_dscnt 0x0
	s_barrier_signal -1
	s_barrier_wait -1
	s_and_saveexec_b32 s9, s0
	s_cbranch_execz .LBB55_37
; %bb.34:
	ds_load_b32 v19, v16
	s_mov_b32 s10, exec_lo
	s_wait_dscnt 0x0
	v_cmpx_eq_u32_e64 v17, v19
	s_cbranch_execz .LBB55_36
; %bb.35:
	v_add_nc_u32_e32 v19, 0xfffffe00, v8
	ds_load_b32 v19, v19
	s_wait_dscnt 0x0
	v_add_f32_e32 v18, v18, v19
.LBB55_36:
	s_or_b32 exec_lo, exec_lo, s10
.LBB55_37:
	s_delay_alu instid0(SALU_CYCLE_1)
	s_or_b32 exec_lo, exec_lo, s9
	v_cmp_gt_u32_e64 s1, 0xff, v0
	s_barrier_signal -1
	s_barrier_wait -1
	ds_store_b32 v8, v18
	s_wait_dscnt 0x0
	s_barrier_signal -1
	s_barrier_wait -1
	s_and_saveexec_b32 s11, s1
	s_cbranch_execz .LBB55_40
; %bb.38:
	ds_load_b32 v19, v1 offset:4
	v_cmp_lt_i32_e64 s10, -1, v17
	s_wait_dscnt 0x0
	v_cmp_ne_u32_e64 s9, v17, v19
	s_and_b32 s9, s10, s9
	s_delay_alu instid0(SALU_CYCLE_1)
	s_and_b32 exec_lo, exec_lo, s9
	s_cbranch_execz .LBB55_40
; %bb.39:
	v_mul_f32_e32 v18, s22, v18
	s_wait_kmcnt 0x0
	global_atomic_add_f32 v17, v18, s[16:17] scale_offset scope:SCOPE_DEV
.LBB55_40:
	s_wait_xcnt 0x0
	s_or_b32 exec_lo, exec_lo, s11
	v_add_nc_u64_e32 v[6:7], 0x100, v[6:7]
	s_delay_alu instid0(VALU_DEP_1)
	v_cmp_gt_i64_e64 s9, s[20:21], v[6:7]
	v_dual_mov_b32 v6, -1 :: v_dual_mov_b32 v7, 0
	s_and_saveexec_b32 s10, s9
	s_cbranch_execz .LBB55_42
; %bb.41:
	v_add_nc_u64_e32 v[6:7], s[14:15], v[4:5]
	v_add_nc_u64_e32 v[4:5], s[12:13], v[4:5]
	global_load_b32 v6, v[6:7], off offset:1024 th:TH_LOAD_NT
	s_wait_loadcnt 0x0
	v_subrev_nc_u32_e32 v6, s24, v6
	global_load_i8 v7, v[2:3], off offset:256 th:TH_LOAD_NT
	global_load_i8 v17, v6, s[18:19]
	global_load_b32 v18, v[4:5], off offset:1024 th:TH_LOAD_NT
	s_wait_loadcnt 0x2
	s_wait_xcnt 0x2
	v_cvt_f32_i32_e32 v2, v7
	s_wait_loadcnt 0x1
	v_cvt_f32_i32_e32 v3, v17
	s_wait_loadcnt 0x0
	s_wait_xcnt 0x1
	v_subrev_nc_u32_e32 v6, s24, v18
	s_delay_alu instid0(VALU_DEP_2)
	v_mul_f32_e32 v7, v2, v3
.LBB55_42:
	s_wait_xcnt 0x0
	s_or_b32 exec_lo, exec_lo, s10
	s_and_saveexec_b32 s9, vcc_lo
	s_cbranch_execz .LBB55_51
; %bb.43:
	v_mov_b32_e32 v2, 0
	s_mov_b32 s10, exec_lo
	ds_load_b32 v2, v2 offset:1020
	s_wait_dscnt 0x0
	v_cmpx_ne_u32_e64 v6, v2
	s_xor_b32 s10, exec_lo, s10
	s_cbranch_execz .LBB55_48
; %bb.44:
	v_cmp_gt_i32_e32 vcc_lo, 0, v2
	s_cbranch_vccnz .LBB55_48
; %bb.45:
	s_mov_b32 s12, exec_lo
	s_mov_b32 s11, exec_lo
	v_mbcnt_lo_u32_b32 v3, s12, 0
	s_delay_alu instid0(VALU_DEP_1)
	v_cmpx_eq_u32_e32 0, v3
	s_cbranch_execz .LBB55_47
; %bb.46:
	v_mov_b32_e32 v3, 0
	s_bcnt1_i32_b32 s12, s12
	s_delay_alu instid0(SALU_CYCLE_1) | instskip(SKIP_3) | instid1(VALU_DEP_1)
	v_cvt_f32_ubyte0_e32 v4, s12
	ds_load_b32 v3, v3 offset:2044
	s_wait_dscnt 0x0
	v_mul_f32_e32 v3, s22, v3
	v_mul_f32_e32 v3, v3, v4
	s_wait_kmcnt 0x0
	global_atomic_add_f32 v2, v3, s[16:17] scale_offset scope:SCOPE_DEV
.LBB55_47:
	s_wait_xcnt 0x0
	s_or_b32 exec_lo, exec_lo, s11
.LBB55_48:
	s_and_not1_saveexec_b32 s10, s10
	s_cbranch_execz .LBB55_50
; %bb.49:
	v_mov_b32_e32 v2, 0
	ds_load_b32 v2, v2 offset:2044
	s_wait_dscnt 0x0
	v_add_f32_e32 v7, v7, v2
.LBB55_50:
	s_or_b32 exec_lo, exec_lo, s10
.LBB55_51:
	s_delay_alu instid0(SALU_CYCLE_1)
	s_or_b32 exec_lo, exec_lo, s9
	s_wait_storecnt 0x0
	s_barrier_signal -1
	s_barrier_wait -1
	ds_store_b32 v1, v6
	ds_store_b32 v8, v7
	s_wait_dscnt 0x0
	s_barrier_signal -1
	s_barrier_wait -1
	s_and_saveexec_b32 s9, s2
	s_cbranch_execz .LBB55_55
; %bb.52:
	ds_load_b32 v2, v9
	s_mov_b32 s2, exec_lo
	s_wait_dscnt 0x0
	v_cmpx_eq_u32_e64 v6, v2
	s_cbranch_execz .LBB55_54
; %bb.53:
	v_add_nc_u32_e32 v2, -4, v8
	ds_load_b32 v2, v2
	s_wait_dscnt 0x0
	v_add_f32_e32 v7, v7, v2
.LBB55_54:
	s_or_b32 exec_lo, exec_lo, s2
.LBB55_55:
	s_delay_alu instid0(SALU_CYCLE_1)
	s_or_b32 exec_lo, exec_lo, s9
	s_barrier_signal -1
	s_barrier_wait -1
	ds_store_b32 v8, v7
	s_wait_dscnt 0x0
	s_barrier_signal -1
	s_barrier_wait -1
	s_and_saveexec_b32 s2, s3
	s_cbranch_execz .LBB55_59
; %bb.56:
	ds_load_b32 v2, v10
	s_mov_b32 s3, exec_lo
	s_wait_dscnt 0x0
	v_cmpx_eq_u32_e64 v6, v2
	s_cbranch_execz .LBB55_58
; %bb.57:
	v_add_nc_u32_e32 v2, -8, v8
	ds_load_b32 v2, v2
	s_wait_dscnt 0x0
	v_add_f32_e32 v7, v7, v2
.LBB55_58:
	s_or_b32 exec_lo, exec_lo, s3
.LBB55_59:
	s_delay_alu instid0(SALU_CYCLE_1)
	s_or_b32 exec_lo, exec_lo, s2
	s_barrier_signal -1
	s_barrier_wait -1
	;; [unrolled: 24-line block ×3, first 2 shown]
	ds_store_b32 v8, v7
	s_wait_dscnt 0x0
	s_barrier_signal -1
	s_barrier_wait -1
	s_and_saveexec_b32 s2, s5
	s_cbranch_execz .LBB55_67
; %bb.64:
	ds_load_b32 v2, v12
	s_mov_b32 s3, exec_lo
	s_wait_dscnt 0x0
	v_cmpx_eq_u32_e64 v6, v2
	s_cbranch_execz .LBB55_66
; %bb.65:
	v_subrev_nc_u32_e32 v2, 32, v8
	ds_load_b32 v2, v2
	s_wait_dscnt 0x0
	v_add_f32_e32 v7, v7, v2
.LBB55_66:
	s_or_b32 exec_lo, exec_lo, s3
.LBB55_67:
	s_delay_alu instid0(SALU_CYCLE_1)
	s_or_b32 exec_lo, exec_lo, s2
	s_barrier_signal -1
	s_barrier_wait -1
	ds_store_b32 v8, v7
	s_wait_dscnt 0x0
	s_barrier_signal -1
	s_barrier_wait -1
	s_and_saveexec_b32 s2, s6
	s_cbranch_execz .LBB55_71
; %bb.68:
	ds_load_b32 v2, v13
	s_mov_b32 s3, exec_lo
	s_wait_dscnt 0x0
	v_cmpx_eq_u32_e64 v6, v2
	s_cbranch_execz .LBB55_70
; %bb.69:
	v_subrev_nc_u32_e32 v2, 64, v8
	ds_load_b32 v2, v2
	s_wait_dscnt 0x0
	v_add_f32_e32 v7, v7, v2
.LBB55_70:
	s_or_b32 exec_lo, exec_lo, s3
.LBB55_71:
	s_delay_alu instid0(SALU_CYCLE_1)
	s_or_b32 exec_lo, exec_lo, s2
	s_barrier_signal -1
	s_barrier_wait -1
	ds_store_b32 v8, v7
	s_wait_dscnt 0x0
	s_barrier_signal -1
	s_barrier_wait -1
	s_and_saveexec_b32 s2, s7
	s_cbranch_execz .LBB55_75
; %bb.72:
	ds_load_b32 v2, v14
	s_mov_b32 s3, exec_lo
	s_wait_dscnt 0x0
	v_cmpx_eq_u32_e64 v6, v2
	s_cbranch_execz .LBB55_74
; %bb.73:
	v_add_nc_u32_e32 v2, 0xffffff80, v8
	ds_load_b32 v2, v2
	s_wait_dscnt 0x0
	v_add_f32_e32 v7, v7, v2
.LBB55_74:
	s_or_b32 exec_lo, exec_lo, s3
.LBB55_75:
	s_delay_alu instid0(SALU_CYCLE_1)
	s_or_b32 exec_lo, exec_lo, s2
	s_barrier_signal -1
	s_barrier_wait -1
	ds_store_b32 v8, v7
	s_wait_dscnt 0x0
	s_barrier_signal -1
	s_barrier_wait -1
	s_and_saveexec_b32 s2, s8
	s_cbranch_execz .LBB55_79
; %bb.76:
	ds_load_b32 v2, v15
	s_mov_b32 s3, exec_lo
	s_wait_dscnt 0x0
	v_cmpx_eq_u32_e64 v6, v2
	s_cbranch_execz .LBB55_78
; %bb.77:
	v_add_nc_u32_e32 v2, 0xffffff00, v8
	ds_load_b32 v2, v2
	s_wait_dscnt 0x0
	v_add_f32_e32 v7, v7, v2
.LBB55_78:
	s_or_b32 exec_lo, exec_lo, s3
.LBB55_79:
	;; [unrolled: 24-line block ×3, first 2 shown]
	s_delay_alu instid0(SALU_CYCLE_1)
	s_or_b32 exec_lo, exec_lo, s2
	s_barrier_signal -1
	s_barrier_wait -1
	ds_store_b32 v8, v7
	s_wait_dscnt 0x0
	s_barrier_signal -1
	s_barrier_wait -1
	s_and_saveexec_b32 s2, s1
	s_cbranch_execz .LBB55_86
; %bb.84:
	ds_load_b32 v1, v1 offset:4
	v_cmp_lt_i32_e64 s0, -1, v6
	s_wait_dscnt 0x0
	v_cmp_ne_u32_e32 vcc_lo, v6, v1
	s_and_b32 s0, s0, vcc_lo
	s_delay_alu instid0(SALU_CYCLE_1)
	s_and_b32 exec_lo, exec_lo, s0
	s_cbranch_execz .LBB55_86
; %bb.85:
	v_mul_f32_e32 v1, s22, v7
	s_wait_kmcnt 0x0
	global_atomic_add_f32 v6, v1, s[16:17] scale_offset scope:SCOPE_DEV
.LBB55_86:
	s_wait_xcnt 0x0
	s_or_b32 exec_lo, exec_lo, s2
	v_cmp_eq_u32_e32 vcc_lo, 0xff, v0
	v_cmp_lt_i32_e64 s0, -1, v6
	s_and_b32 s0, vcc_lo, s0
	s_delay_alu instid0(SALU_CYCLE_1)
	s_and_saveexec_b32 s1, s0
	s_cbranch_execz .LBB55_88
; %bb.87:
	v_mul_f32_e32 v0, s22, v7
	s_wait_kmcnt 0x0
	global_atomic_add_f32 v6, v0, s[16:17] scale_offset scope:SCOPE_DEV
.LBB55_88:
	s_endpgm
	.section	.rodata,"a",@progbits
	.p2align	6, 0x0
	.amdhsa_kernel _ZN9rocsparseL19coomvn_atomic_loopsILj256ELj2EiaaffEEvlNS_24const_host_device_scalarIT5_EEPKT1_S6_PKT2_PKT3_PT4_21rocsparse_index_base_b
		.amdhsa_group_segment_fixed_size 2048
		.amdhsa_private_segment_fixed_size 0
		.amdhsa_kernarg_size 64
		.amdhsa_user_sgpr_count 2
		.amdhsa_user_sgpr_dispatch_ptr 0
		.amdhsa_user_sgpr_queue_ptr 0
		.amdhsa_user_sgpr_kernarg_segment_ptr 1
		.amdhsa_user_sgpr_dispatch_id 0
		.amdhsa_user_sgpr_kernarg_preload_length 0
		.amdhsa_user_sgpr_kernarg_preload_offset 0
		.amdhsa_user_sgpr_private_segment_size 0
		.amdhsa_wavefront_size32 1
		.amdhsa_uses_dynamic_stack 0
		.amdhsa_enable_private_segment 0
		.amdhsa_system_sgpr_workgroup_id_x 1
		.amdhsa_system_sgpr_workgroup_id_y 0
		.amdhsa_system_sgpr_workgroup_id_z 0
		.amdhsa_system_sgpr_workgroup_info 0
		.amdhsa_system_vgpr_workitem_id 0
		.amdhsa_next_free_vgpr 20
		.amdhsa_next_free_sgpr 26
		.amdhsa_named_barrier_count 0
		.amdhsa_reserve_vcc 1
		.amdhsa_float_round_mode_32 0
		.amdhsa_float_round_mode_16_64 0
		.amdhsa_float_denorm_mode_32 3
		.amdhsa_float_denorm_mode_16_64 3
		.amdhsa_fp16_overflow 0
		.amdhsa_memory_ordered 1
		.amdhsa_forward_progress 1
		.amdhsa_inst_pref_size 21
		.amdhsa_round_robin_scheduling 0
		.amdhsa_exception_fp_ieee_invalid_op 0
		.amdhsa_exception_fp_denorm_src 0
		.amdhsa_exception_fp_ieee_div_zero 0
		.amdhsa_exception_fp_ieee_overflow 0
		.amdhsa_exception_fp_ieee_underflow 0
		.amdhsa_exception_fp_ieee_inexact 0
		.amdhsa_exception_int_div_zero 0
	.end_amdhsa_kernel
	.section	.text._ZN9rocsparseL19coomvn_atomic_loopsILj256ELj2EiaaffEEvlNS_24const_host_device_scalarIT5_EEPKT1_S6_PKT2_PKT3_PT4_21rocsparse_index_base_b,"axG",@progbits,_ZN9rocsparseL19coomvn_atomic_loopsILj256ELj2EiaaffEEvlNS_24const_host_device_scalarIT5_EEPKT1_S6_PKT2_PKT3_PT4_21rocsparse_index_base_b,comdat
.Lfunc_end55:
	.size	_ZN9rocsparseL19coomvn_atomic_loopsILj256ELj2EiaaffEEvlNS_24const_host_device_scalarIT5_EEPKT1_S6_PKT2_PKT3_PT4_21rocsparse_index_base_b, .Lfunc_end55-_ZN9rocsparseL19coomvn_atomic_loopsILj256ELj2EiaaffEEvlNS_24const_host_device_scalarIT5_EEPKT1_S6_PKT2_PKT3_PT4_21rocsparse_index_base_b
                                        ; -- End function
	.set _ZN9rocsparseL19coomvn_atomic_loopsILj256ELj2EiaaffEEvlNS_24const_host_device_scalarIT5_EEPKT1_S6_PKT2_PKT3_PT4_21rocsparse_index_base_b.num_vgpr, 20
	.set _ZN9rocsparseL19coomvn_atomic_loopsILj256ELj2EiaaffEEvlNS_24const_host_device_scalarIT5_EEPKT1_S6_PKT2_PKT3_PT4_21rocsparse_index_base_b.num_agpr, 0
	.set _ZN9rocsparseL19coomvn_atomic_loopsILj256ELj2EiaaffEEvlNS_24const_host_device_scalarIT5_EEPKT1_S6_PKT2_PKT3_PT4_21rocsparse_index_base_b.numbered_sgpr, 26
	.set _ZN9rocsparseL19coomvn_atomic_loopsILj256ELj2EiaaffEEvlNS_24const_host_device_scalarIT5_EEPKT1_S6_PKT2_PKT3_PT4_21rocsparse_index_base_b.num_named_barrier, 0
	.set _ZN9rocsparseL19coomvn_atomic_loopsILj256ELj2EiaaffEEvlNS_24const_host_device_scalarIT5_EEPKT1_S6_PKT2_PKT3_PT4_21rocsparse_index_base_b.private_seg_size, 0
	.set _ZN9rocsparseL19coomvn_atomic_loopsILj256ELj2EiaaffEEvlNS_24const_host_device_scalarIT5_EEPKT1_S6_PKT2_PKT3_PT4_21rocsparse_index_base_b.uses_vcc, 1
	.set _ZN9rocsparseL19coomvn_atomic_loopsILj256ELj2EiaaffEEvlNS_24const_host_device_scalarIT5_EEPKT1_S6_PKT2_PKT3_PT4_21rocsparse_index_base_b.uses_flat_scratch, 0
	.set _ZN9rocsparseL19coomvn_atomic_loopsILj256ELj2EiaaffEEvlNS_24const_host_device_scalarIT5_EEPKT1_S6_PKT2_PKT3_PT4_21rocsparse_index_base_b.has_dyn_sized_stack, 0
	.set _ZN9rocsparseL19coomvn_atomic_loopsILj256ELj2EiaaffEEvlNS_24const_host_device_scalarIT5_EEPKT1_S6_PKT2_PKT3_PT4_21rocsparse_index_base_b.has_recursion, 0
	.set _ZN9rocsparseL19coomvn_atomic_loopsILj256ELj2EiaaffEEvlNS_24const_host_device_scalarIT5_EEPKT1_S6_PKT2_PKT3_PT4_21rocsparse_index_base_b.has_indirect_call, 0
	.section	.AMDGPU.csdata,"",@progbits
; Kernel info:
; codeLenInByte = 2596
; TotalNumSgprs: 28
; NumVgprs: 20
; ScratchSize: 0
; MemoryBound: 0
; FloatMode: 240
; IeeeMode: 1
; LDSByteSize: 2048 bytes/workgroup (compile time only)
; SGPRBlocks: 0
; VGPRBlocks: 1
; NumSGPRsForWavesPerEU: 28
; NumVGPRsForWavesPerEU: 20
; NamedBarCnt: 0
; Occupancy: 16
; WaveLimiterHint : 1
; COMPUTE_PGM_RSRC2:SCRATCH_EN: 0
; COMPUTE_PGM_RSRC2:USER_SGPR: 2
; COMPUTE_PGM_RSRC2:TRAP_HANDLER: 0
; COMPUTE_PGM_RSRC2:TGID_X_EN: 1
; COMPUTE_PGM_RSRC2:TGID_Y_EN: 0
; COMPUTE_PGM_RSRC2:TGID_Z_EN: 0
; COMPUTE_PGM_RSRC2:TIDIG_COMP_CNT: 0
	.section	.text._ZN9rocsparseL22coomvn_segmented_loopsILj256ElaaffEEvlT0_NS_24const_host_device_scalarIT4_EEPKS1_S6_PKT1_PKT2_PT3_PS1_PS3_21rocsparse_index_base_b,"axG",@progbits,_ZN9rocsparseL22coomvn_segmented_loopsILj256ElaaffEEvlT0_NS_24const_host_device_scalarIT4_EEPKS1_S6_PKT1_PKT2_PT3_PS1_PS3_21rocsparse_index_base_b,comdat
	.globl	_ZN9rocsparseL22coomvn_segmented_loopsILj256ElaaffEEvlT0_NS_24const_host_device_scalarIT4_EEPKS1_S6_PKT1_PKT2_PT3_PS1_PS3_21rocsparse_index_base_b ; -- Begin function _ZN9rocsparseL22coomvn_segmented_loopsILj256ElaaffEEvlT0_NS_24const_host_device_scalarIT4_EEPKS1_S6_PKT1_PKT2_PT3_PS1_PS3_21rocsparse_index_base_b
	.p2align	8
	.type	_ZN9rocsparseL22coomvn_segmented_loopsILj256ElaaffEEvlT0_NS_24const_host_device_scalarIT4_EEPKS1_S6_PKT1_PKT2_PT3_PS1_PS3_21rocsparse_index_base_b,@function
_ZN9rocsparseL22coomvn_segmented_loopsILj256ElaaffEEvlT0_NS_24const_host_device_scalarIT4_EEPKS1_S6_PKT1_PKT2_PT3_PS1_PS3_21rocsparse_index_base_b: ; @_ZN9rocsparseL22coomvn_segmented_loopsILj256ElaaffEEvlT0_NS_24const_host_device_scalarIT4_EEPKS1_S6_PKT1_PKT2_PT3_PS1_PS3_21rocsparse_index_base_b
; %bb.0:
	s_clause 0x1
	s_load_b64 s[30:31], s[0:1], 0x50
	s_load_b64 s[14:15], s[0:1], 0x10
	s_wait_kmcnt 0x0
	s_bitcmp1_b32 s31, 0
	s_cselect_b32 s2, -1, 0
	s_delay_alu instid0(SALU_CYCLE_1)
	s_and_b32 vcc_lo, exec_lo, s2
	s_cbranch_vccnz .LBB56_2
; %bb.1:
	s_load_b32 s14, s[14:15], 0x0
.LBB56_2:
	s_wait_kmcnt 0x0
	s_cmp_eq_f32 s14, 0
	s_mov_b32 s29, 0
	s_cbranch_scc1 .LBB56_89
; %bb.3:
	s_load_b128 s[24:27], s[0:1], 0x0
	s_bfe_u32 s2, ttmp6, 0x4000c
	s_load_b256 s[16:23], s[0:1], 0x18
	s_add_co_i32 s2, s2, 1
	s_and_b32 s3, ttmp6, 15
	s_mul_i32 s2, ttmp9, s2
	s_getreg_b32 s4, hwreg(HW_REG_IB_STS2, 6, 4)
	s_add_co_i32 s3, s3, s2
	s_cmp_eq_u32 s4, 0
	v_mov_b64_e32 v[2:3], -1
	s_cselect_b32 s28, ttmp9, s3
	v_mov_b32_e32 v14, 0
	s_wait_kmcnt 0x0
	s_mul_u64 s[36:37], s[28:29], s[26:27]
	s_delay_alu instid0(SALU_CYCLE_1) | instskip(NEXT) | instid1(SALU_CYCLE_1)
	s_lshl_b64 s[2:3], s[36:37], 8
	v_dual_mov_b32 v5, s3 :: v_dual_bitop2_b32 v4, s2, v0 bitop3:0x54
	s_mov_b32 s2, exec_lo
	s_delay_alu instid0(VALU_DEP_1)
	v_cmpx_gt_i64_e64 s[24:25], v[4:5]
	s_cbranch_execz .LBB56_5
; %bb.4:
	v_lshlrev_b64_e32 v[2:3], 3, v[4:5]
	s_mov_b32 s31, 0
	s_delay_alu instid0(VALU_DEP_1)
	v_add_nc_u64_e32 v[6:7], s[18:19], v[2:3]
	v_add_nc_u64_e32 v[2:3], s[16:17], v[2:3]
	global_load_b64 v[8:9], v[6:7], off th:TH_LOAD_NT
	global_load_b64 v[10:11], v[2:3], off th:TH_LOAD_NT
	s_wait_loadcnt 0x1
	s_wait_xcnt 0x1
	v_add_nc_u64_e32 v[6:7], s[22:23], v[8:9]
	s_wait_loadcnt 0x0
	v_sub_nc_u64_e64 v[2:3], v[10:11], s[30:31]
	s_ashr_i32 s31, s30, 31
	v_add_nc_u64_e32 v[8:9], s[20:21], v[4:5]
	s_sub_nc_u64 s[4:5], 0, s[30:31]
	s_delay_alu instid0(VALU_DEP_3) | instid1(SALU_CYCLE_1)
	v_add_nc_u64_e32 v[6:7], s[4:5], v[6:7]
	global_load_i8 v1, v[8:9], off th:TH_LOAD_NT
	global_load_i8 v10, v[6:7], off
	s_wait_loadcnt 0x1
	v_cvt_f32_i32_e32 v1, v1
	s_wait_loadcnt 0x0
	v_cvt_f32_i32_e32 v6, v10
	s_delay_alu instid0(VALU_DEP_1)
	v_mul_f32_e32 v14, v1, v6
.LBB56_5:
	s_or_b32 exec_lo, exec_lo, s2
	v_dual_lshlrev_b32 v6, 2, v0 :: v_dual_lshlrev_b32 v1, 3, v0
	v_cmp_eq_u32_e64 s2, 0, v0
	v_cmp_ne_u32_e64 s3, 0, v0
	ds_store_b64 v1, v[2:3]
	ds_store_b32 v6, v14 offset:2048
	v_or_b32_e32 v12, 0x800, v6
	v_add_nc_u32_e32 v13, -8, v1
	s_wait_dscnt 0x0
	s_barrier_signal -1
	s_barrier_wait -1
	s_and_saveexec_b32 s4, s3
	s_cbranch_execz .LBB56_9
; %bb.6:
	ds_load_b64 v[6:7], v13
	s_mov_b32 s5, exec_lo
	s_wait_dscnt 0x0
	v_cmpx_eq_u64_e64 v[2:3], v[6:7]
	s_cbranch_execz .LBB56_8
; %bb.7:
	v_add_nc_u32_e32 v6, -4, v12
	ds_load_b32 v6, v6
	s_wait_dscnt 0x0
	v_add_f32_e32 v14, v14, v6
.LBB56_8:
	s_or_b32 exec_lo, exec_lo, s5
.LBB56_9:
	s_delay_alu instid0(SALU_CYCLE_1)
	s_or_b32 exec_lo, exec_lo, s4
	v_cmp_lt_u32_e64 s4, 1, v0
	v_add_nc_u32_e32 v15, -16, v1
	s_barrier_signal -1
	s_barrier_wait -1
	ds_store_b32 v12, v14
	s_wait_dscnt 0x0
	s_barrier_signal -1
	s_barrier_wait -1
	s_and_saveexec_b32 s5, s4
	s_cbranch_execz .LBB56_13
; %bb.10:
	ds_load_b64 v[6:7], v15
	s_mov_b32 s6, exec_lo
	s_wait_dscnt 0x0
	v_cmpx_eq_u64_e64 v[2:3], v[6:7]
	s_cbranch_execz .LBB56_12
; %bb.11:
	v_add_nc_u32_e32 v6, -8, v12
	ds_load_b32 v6, v6
	s_wait_dscnt 0x0
	v_add_f32_e32 v14, v14, v6
.LBB56_12:
	s_or_b32 exec_lo, exec_lo, s6
.LBB56_13:
	s_delay_alu instid0(SALU_CYCLE_1)
	s_or_b32 exec_lo, exec_lo, s5
	v_cmp_lt_u32_e64 s5, 3, v0
	v_subrev_nc_u32_e32 v16, 32, v1
	s_barrier_signal -1
	s_barrier_wait -1
	ds_store_b32 v12, v14
	s_wait_dscnt 0x0
	s_barrier_signal -1
	s_barrier_wait -1
	s_and_saveexec_b32 s6, s5
	s_cbranch_execz .LBB56_17
; %bb.14:
	ds_load_b64 v[6:7], v16
	s_mov_b32 s7, exec_lo
	s_wait_dscnt 0x0
	v_cmpx_eq_u64_e64 v[2:3], v[6:7]
	s_cbranch_execz .LBB56_16
; %bb.15:
	v_add_nc_u32_e32 v6, -16, v12
	ds_load_b32 v6, v6
	s_wait_dscnt 0x0
	v_add_f32_e32 v14, v14, v6
.LBB56_16:
	s_or_b32 exec_lo, exec_lo, s7
.LBB56_17:
	s_delay_alu instid0(SALU_CYCLE_1)
	s_or_b32 exec_lo, exec_lo, s6
	v_cmp_lt_u32_e64 s6, 7, v0
	v_subrev_nc_u32_e32 v17, 64, v1
	s_barrier_signal -1
	s_barrier_wait -1
	ds_store_b32 v12, v14
	s_wait_dscnt 0x0
	s_barrier_signal -1
	s_barrier_wait -1
	s_and_saveexec_b32 s7, s6
	s_cbranch_execz .LBB56_21
; %bb.18:
	ds_load_b64 v[6:7], v17
	s_mov_b32 s8, exec_lo
	s_wait_dscnt 0x0
	v_cmpx_eq_u64_e64 v[2:3], v[6:7]
	s_cbranch_execz .LBB56_20
; %bb.19:
	v_subrev_nc_u32_e32 v6, 32, v12
	ds_load_b32 v6, v6
	s_wait_dscnt 0x0
	v_add_f32_e32 v14, v14, v6
.LBB56_20:
	s_or_b32 exec_lo, exec_lo, s8
.LBB56_21:
	s_delay_alu instid0(SALU_CYCLE_1)
	s_or_b32 exec_lo, exec_lo, s7
	v_cmp_lt_u32_e64 s7, 15, v0
	v_add_nc_u32_e32 v18, 0xffffff80, v1
	s_barrier_signal -1
	s_barrier_wait -1
	ds_store_b32 v12, v14
	s_wait_dscnt 0x0
	s_barrier_signal -1
	s_barrier_wait -1
	s_and_saveexec_b32 s8, s7
	s_cbranch_execz .LBB56_25
; %bb.22:
	ds_load_b64 v[6:7], v18
	s_mov_b32 s9, exec_lo
	s_wait_dscnt 0x0
	v_cmpx_eq_u64_e64 v[2:3], v[6:7]
	s_cbranch_execz .LBB56_24
; %bb.23:
	v_subrev_nc_u32_e32 v6, 64, v12
	ds_load_b32 v6, v6
	s_wait_dscnt 0x0
	v_add_f32_e32 v14, v14, v6
.LBB56_24:
	s_or_b32 exec_lo, exec_lo, s9
.LBB56_25:
	s_delay_alu instid0(SALU_CYCLE_1)
	s_or_b32 exec_lo, exec_lo, s8
	v_cmp_lt_u32_e64 s8, 31, v0
	v_add_nc_u32_e32 v19, 0xffffff00, v1
	s_barrier_signal -1
	s_barrier_wait -1
	ds_store_b32 v12, v14
	s_wait_dscnt 0x0
	s_barrier_signal -1
	s_barrier_wait -1
	s_and_saveexec_b32 s9, s8
	s_cbranch_execz .LBB56_29
; %bb.26:
	ds_load_b64 v[6:7], v19
	s_mov_b32 s10, exec_lo
	s_wait_dscnt 0x0
	v_cmpx_eq_u64_e64 v[2:3], v[6:7]
	s_cbranch_execz .LBB56_28
; %bb.27:
	v_add_nc_u32_e32 v6, 0xffffff80, v12
	ds_load_b32 v6, v6
	s_wait_dscnt 0x0
	v_add_f32_e32 v14, v14, v6
.LBB56_28:
	s_or_b32 exec_lo, exec_lo, s10
.LBB56_29:
	s_delay_alu instid0(SALU_CYCLE_1)
	s_or_b32 exec_lo, exec_lo, s9
	v_cmp_lt_u32_e64 s9, 63, v0
	v_add_nc_u32_e32 v20, 0xfffffe00, v1
	s_barrier_signal -1
	s_barrier_wait -1
	ds_store_b32 v12, v14
	s_wait_dscnt 0x0
	s_barrier_signal -1
	s_barrier_wait -1
	s_and_saveexec_b32 s10, s9
	s_cbranch_execz .LBB56_33
; %bb.30:
	ds_load_b64 v[6:7], v20
	s_mov_b32 s11, exec_lo
	s_wait_dscnt 0x0
	v_cmpx_eq_u64_e64 v[2:3], v[6:7]
	s_cbranch_execz .LBB56_32
; %bb.31:
	v_add_nc_u32_e32 v6, 0xffffff00, v12
	ds_load_b32 v6, v6
	s_wait_dscnt 0x0
	v_add_f32_e32 v14, v14, v6
.LBB56_32:
	s_or_b32 exec_lo, exec_lo, s11
.LBB56_33:
	;; [unrolled: 26-line block ×3, first 2 shown]
	s_delay_alu instid0(SALU_CYCLE_1)
	s_or_b32 exec_lo, exec_lo, s11
	s_load_b64 s[34:35], s[0:1], 0x38
	v_cmp_gt_u32_e64 s11, 0xff, v0
	s_barrier_signal -1
	s_barrier_wait -1
	ds_store_b32 v12, v14
	s_wait_dscnt 0x0
	s_barrier_signal -1
	s_barrier_wait -1
	s_and_saveexec_b32 s13, s11
	s_cbranch_execz .LBB56_40
; %bb.38:
	ds_load_b64 v[6:7], v1 offset:8
	v_cmp_lt_i64_e64 s12, -1, v[2:3]
	s_wait_dscnt 0x0
	v_cmp_ne_u64_e32 vcc_lo, v[2:3], v[6:7]
	s_and_b32 s12, s12, vcc_lo
	s_delay_alu instid0(SALU_CYCLE_1)
	s_and_b32 exec_lo, exec_lo, s12
	s_cbranch_execz .LBB56_40
; %bb.39:
	s_wait_kmcnt 0x0
	v_lshl_add_u64 v[6:7], v[2:3], 2, s[34:35]
	global_load_b32 v8, v[6:7], off
	s_wait_loadcnt 0x0
	v_fmac_f32_e32 v8, s14, v14
	global_store_b32 v[6:7], v8, off
.LBB56_40:
	s_wait_xcnt 0x0
	s_or_b32 exec_lo, exec_lo, s13
	v_cmp_lt_i64_e64 s12, s[26:27], 2
	s_and_b32 vcc_lo, exec_lo, s12
	s_cbranch_vccnz .LBB56_87
; %bb.41:
	s_lshl_b64 s[12:13], s[36:37], 11
	v_add_nc_u64_e32 v[4:5], 0x100, v[4:5]
	v_lshl_or_b32 v2, v0, 3, s12
	v_dual_mov_b32 v3, s13 :: v_dual_add_nc_u32 v22, -4, v12
	s_ashr_i32 s13, s30, 31
	s_mov_b32 s12, s30
	v_dual_add_nc_u32 v23, -8, v12 :: v_dual_add_nc_u32 v24, -16, v12
	s_delay_alu instid0(VALU_DEP_2)
	v_add_nc_u64_e32 v[2:3], 0x800, v[2:3]
	v_subrev_nc_u32_e32 v25, 32, v12
	v_subrev_nc_u32_e32 v26, 64, v12
	v_dual_mov_b32 v30, 0 :: v_dual_add_nc_u32 v27, 0xffffff80, v12
	v_add_nc_u32_e32 v28, 0xffffff00, v12
	v_add_nc_u32_e32 v29, 0xfffffe00, v12
	v_add_nc_u64_e32 v[6:7], s[18:19], v[2:3]
	v_add_nc_u64_e32 v[8:9], s[16:17], v[2:3]
	s_sub_nc_u64 s[12:13], 0, s[12:13]
	s_add_nc_u64 s[26:27], s[26:27], -1
	s_mov_b32 s31, 0
	s_mov_b64 s[16:17], 0
	s_add_nc_u64 s[18:19], s[22:23], s[12:13]
	s_branch .LBB56_43
.LBB56_42:                              ;   in Loop: Header=BB56_43 Depth=1
	s_wait_xcnt 0x0
	s_or_b32 exec_lo, exec_lo, s13
	s_add_nc_u64 s[16:17], s[16:17], 1
	v_add_nc_u64_e32 v[6:7], 0x800, v[6:7]
	v_cmp_le_u64_e64 s12, s[26:27], s[16:17]
	v_add_nc_u64_e32 v[4:5], 0x100, v[4:5]
	v_add_nc_u64_e32 v[8:9], 0x800, v[8:9]
	s_and_b32 vcc_lo, exec_lo, s12
	s_cbranch_vccnz .LBB56_87
.LBB56_43:                              ; =>This Inner Loop Header: Depth=1
	v_mov_b64_e32 v[2:3], -1
	v_mov_b32_e32 v14, 0
	s_mov_b32 s12, exec_lo
	v_cmpx_gt_i64_e64 s[24:25], v[4:5]
	s_cbranch_execz .LBB56_45
; %bb.44:                               ;   in Loop: Header=BB56_43 Depth=1
	global_load_b64 v[2:3], v[6:7], off th:TH_LOAD_NT
	v_add_nc_u64_e32 v[10:11], s[20:21], v[4:5]
	s_wait_loadcnt 0x0
	v_add_nc_u64_e32 v[2:3], s[18:19], v[2:3]
	global_load_i8 v14, v[10:11], off th:TH_LOAD_NT
	global_load_i8 v31, v[2:3], off
	global_load_b64 v[32:33], v[8:9], off th:TH_LOAD_NT
	s_wait_loadcnt 0x2
	s_wait_xcnt 0x2
	v_cvt_f32_i32_e32 v10, v14
	s_wait_loadcnt 0x1
	v_cvt_f32_i32_e32 v11, v31
	s_wait_loadcnt 0x0
	s_wait_xcnt 0x1
	v_sub_nc_u64_e64 v[2:3], v[32:33], s[30:31]
	s_delay_alu instid0(VALU_DEP_2)
	v_mul_f32_e32 v14, v10, v11
.LBB56_45:                              ;   in Loop: Header=BB56_43 Depth=1
	s_wait_xcnt 0x0
	s_or_b32 exec_lo, exec_lo, s12
	s_and_saveexec_b32 s12, s2
	s_cbranch_execz .LBB56_52
; %bb.46:                               ;   in Loop: Header=BB56_43 Depth=1
	ds_load_b64 v[10:11], v30 offset:2040
	s_mov_b32 s13, exec_lo
	s_wait_dscnt 0x0
	v_cmpx_ne_u64_e64 v[2:3], v[10:11]
	s_xor_b32 s13, exec_lo, s13
	s_cbranch_execz .LBB56_49
; %bb.47:                               ;   in Loop: Header=BB56_43 Depth=1
	v_cmp_gt_i64_e32 vcc_lo, 0, v[10:11]
	s_cbranch_vccnz .LBB56_49
; %bb.48:                               ;   in Loop: Header=BB56_43 Depth=1
	v_lshlrev_b64_e32 v[10:11], 2, v[10:11]
	ds_load_b32 v32, v30 offset:3068
	s_wait_kmcnt 0x0
	v_add_nc_u64_e32 v[10:11], s[34:35], v[10:11]
	global_load_b32 v31, v[10:11], off
	s_wait_loadcnt_dscnt 0x0
	v_fmac_f32_e32 v31, s14, v32
	global_store_b32 v[10:11], v31, off
.LBB56_49:                              ;   in Loop: Header=BB56_43 Depth=1
	s_wait_xcnt 0x0
	s_and_not1_saveexec_b32 s13, s13
	s_cbranch_execz .LBB56_51
; %bb.50:                               ;   in Loop: Header=BB56_43 Depth=1
	ds_load_b32 v10, v30 offset:3068
	s_wait_dscnt 0x0
	v_add_f32_e32 v14, v14, v10
.LBB56_51:                              ;   in Loop: Header=BB56_43 Depth=1
	s_or_b32 exec_lo, exec_lo, s13
.LBB56_52:                              ;   in Loop: Header=BB56_43 Depth=1
	s_delay_alu instid0(SALU_CYCLE_1)
	s_or_b32 exec_lo, exec_lo, s12
	s_wait_storecnt 0x0
	s_barrier_signal -1
	s_barrier_wait -1
	ds_store_b64 v1, v[2:3]
	ds_store_b32 v12, v14
	s_wait_dscnt 0x0
	s_barrier_signal -1
	s_barrier_wait -1
	s_and_saveexec_b32 s12, s3
	s_cbranch_execz .LBB56_56
; %bb.53:                               ;   in Loop: Header=BB56_43 Depth=1
	ds_load_b64 v[10:11], v13
	s_mov_b32 s13, exec_lo
	s_wait_dscnt 0x0
	v_cmpx_eq_u64_e64 v[2:3], v[10:11]
	s_cbranch_execz .LBB56_55
; %bb.54:                               ;   in Loop: Header=BB56_43 Depth=1
	ds_load_b32 v10, v22
	s_wait_dscnt 0x0
	v_add_f32_e32 v14, v14, v10
.LBB56_55:                              ;   in Loop: Header=BB56_43 Depth=1
	s_or_b32 exec_lo, exec_lo, s13
.LBB56_56:                              ;   in Loop: Header=BB56_43 Depth=1
	s_delay_alu instid0(SALU_CYCLE_1)
	s_or_b32 exec_lo, exec_lo, s12
	s_barrier_signal -1
	s_barrier_wait -1
	ds_store_b32 v12, v14
	s_wait_dscnt 0x0
	s_barrier_signal -1
	s_barrier_wait -1
	s_and_saveexec_b32 s12, s4
	s_cbranch_execz .LBB56_60
; %bb.57:                               ;   in Loop: Header=BB56_43 Depth=1
	ds_load_b64 v[10:11], v15
	s_mov_b32 s13, exec_lo
	s_wait_dscnt 0x0
	v_cmpx_eq_u64_e64 v[2:3], v[10:11]
	s_cbranch_execz .LBB56_59
; %bb.58:                               ;   in Loop: Header=BB56_43 Depth=1
	ds_load_b32 v10, v23
	s_wait_dscnt 0x0
	v_add_f32_e32 v14, v14, v10
.LBB56_59:                              ;   in Loop: Header=BB56_43 Depth=1
	s_or_b32 exec_lo, exec_lo, s13
.LBB56_60:                              ;   in Loop: Header=BB56_43 Depth=1
	s_delay_alu instid0(SALU_CYCLE_1)
	s_or_b32 exec_lo, exec_lo, s12
	s_barrier_signal -1
	s_barrier_wait -1
	;; [unrolled: 23-line block ×8, first 2 shown]
	ds_store_b32 v12, v14
	s_wait_dscnt 0x0
	s_barrier_signal -1
	s_barrier_wait -1
	s_and_saveexec_b32 s13, s11
	s_cbranch_execz .LBB56_42
; %bb.85:                               ;   in Loop: Header=BB56_43 Depth=1
	ds_load_b64 v[10:11], v1 offset:8
	v_cmp_lt_i64_e64 s12, -1, v[2:3]
	s_wait_dscnt 0x0
	v_cmp_ne_u64_e32 vcc_lo, v[2:3], v[10:11]
	s_and_b32 s12, s12, vcc_lo
	s_delay_alu instid0(SALU_CYCLE_1)
	s_and_b32 exec_lo, exec_lo, s12
	s_cbranch_execz .LBB56_42
; %bb.86:                               ;   in Loop: Header=BB56_43 Depth=1
	s_wait_kmcnt 0x0
	v_lshl_add_u64 v[10:11], v[2:3], 2, s[34:35]
	global_load_b32 v31, v[10:11], off
	s_wait_loadcnt 0x0
	v_fmac_f32_e32 v31, s14, v14
	global_store_b32 v[10:11], v31, off
	s_branch .LBB56_42
.LBB56_87:
	s_load_b128 s[4:7], s[0:1], 0x40
	s_wait_xcnt 0x0
	s_mov_b32 s0, exec_lo
	v_cmpx_eq_u32_e32 0xff, v0
	s_cbranch_execz .LBB56_89
; %bb.88:
	v_dual_mov_b32 v0, 0 :: v_dual_mul_f32 v1, s14, v14
	s_lshl_b64 s[0:1], s[28:29], 3
	s_lshl_b64 s[2:3], s[28:29], 2
	s_wait_kmcnt 0x0
	s_add_nc_u64 s[0:1], s[4:5], s[0:1]
	s_add_nc_u64 s[2:3], s[6:7], s[2:3]
	s_clause 0x1
	global_store_b64 v0, v[2:3], s[0:1] th:TH_STORE_NT
	global_store_b32 v0, v1, s[2:3] th:TH_STORE_NT
.LBB56_89:
	s_endpgm
	.section	.rodata,"a",@progbits
	.p2align	6, 0x0
	.amdhsa_kernel _ZN9rocsparseL22coomvn_segmented_loopsILj256ElaaffEEvlT0_NS_24const_host_device_scalarIT4_EEPKS1_S6_PKT1_PKT2_PT3_PS1_PS3_21rocsparse_index_base_b
		.amdhsa_group_segment_fixed_size 3072
		.amdhsa_private_segment_fixed_size 0
		.amdhsa_kernarg_size 88
		.amdhsa_user_sgpr_count 2
		.amdhsa_user_sgpr_dispatch_ptr 0
		.amdhsa_user_sgpr_queue_ptr 0
		.amdhsa_user_sgpr_kernarg_segment_ptr 1
		.amdhsa_user_sgpr_dispatch_id 0
		.amdhsa_user_sgpr_kernarg_preload_length 0
		.amdhsa_user_sgpr_kernarg_preload_offset 0
		.amdhsa_user_sgpr_private_segment_size 0
		.amdhsa_wavefront_size32 1
		.amdhsa_uses_dynamic_stack 0
		.amdhsa_enable_private_segment 0
		.amdhsa_system_sgpr_workgroup_id_x 1
		.amdhsa_system_sgpr_workgroup_id_y 0
		.amdhsa_system_sgpr_workgroup_id_z 0
		.amdhsa_system_sgpr_workgroup_info 0
		.amdhsa_system_vgpr_workitem_id 0
		.amdhsa_next_free_vgpr 34
		.amdhsa_next_free_sgpr 38
		.amdhsa_named_barrier_count 0
		.amdhsa_reserve_vcc 1
		.amdhsa_float_round_mode_32 0
		.amdhsa_float_round_mode_16_64 0
		.amdhsa_float_denorm_mode_32 3
		.amdhsa_float_denorm_mode_16_64 3
		.amdhsa_fp16_overflow 0
		.amdhsa_memory_ordered 1
		.amdhsa_forward_progress 1
		.amdhsa_inst_pref_size 23
		.amdhsa_round_robin_scheduling 0
		.amdhsa_exception_fp_ieee_invalid_op 0
		.amdhsa_exception_fp_denorm_src 0
		.amdhsa_exception_fp_ieee_div_zero 0
		.amdhsa_exception_fp_ieee_overflow 0
		.amdhsa_exception_fp_ieee_underflow 0
		.amdhsa_exception_fp_ieee_inexact 0
		.amdhsa_exception_int_div_zero 0
	.end_amdhsa_kernel
	.section	.text._ZN9rocsparseL22coomvn_segmented_loopsILj256ElaaffEEvlT0_NS_24const_host_device_scalarIT4_EEPKS1_S6_PKT1_PKT2_PT3_PS1_PS3_21rocsparse_index_base_b,"axG",@progbits,_ZN9rocsparseL22coomvn_segmented_loopsILj256ElaaffEEvlT0_NS_24const_host_device_scalarIT4_EEPKS1_S6_PKT1_PKT2_PT3_PS1_PS3_21rocsparse_index_base_b,comdat
.Lfunc_end56:
	.size	_ZN9rocsparseL22coomvn_segmented_loopsILj256ElaaffEEvlT0_NS_24const_host_device_scalarIT4_EEPKS1_S6_PKT1_PKT2_PT3_PS1_PS3_21rocsparse_index_base_b, .Lfunc_end56-_ZN9rocsparseL22coomvn_segmented_loopsILj256ElaaffEEvlT0_NS_24const_host_device_scalarIT4_EEPKS1_S6_PKT1_PKT2_PT3_PS1_PS3_21rocsparse_index_base_b
                                        ; -- End function
	.set _ZN9rocsparseL22coomvn_segmented_loopsILj256ElaaffEEvlT0_NS_24const_host_device_scalarIT4_EEPKS1_S6_PKT1_PKT2_PT3_PS1_PS3_21rocsparse_index_base_b.num_vgpr, 34
	.set _ZN9rocsparseL22coomvn_segmented_loopsILj256ElaaffEEvlT0_NS_24const_host_device_scalarIT4_EEPKS1_S6_PKT1_PKT2_PT3_PS1_PS3_21rocsparse_index_base_b.num_agpr, 0
	.set _ZN9rocsparseL22coomvn_segmented_loopsILj256ElaaffEEvlT0_NS_24const_host_device_scalarIT4_EEPKS1_S6_PKT1_PKT2_PT3_PS1_PS3_21rocsparse_index_base_b.numbered_sgpr, 38
	.set _ZN9rocsparseL22coomvn_segmented_loopsILj256ElaaffEEvlT0_NS_24const_host_device_scalarIT4_EEPKS1_S6_PKT1_PKT2_PT3_PS1_PS3_21rocsparse_index_base_b.num_named_barrier, 0
	.set _ZN9rocsparseL22coomvn_segmented_loopsILj256ElaaffEEvlT0_NS_24const_host_device_scalarIT4_EEPKS1_S6_PKT1_PKT2_PT3_PS1_PS3_21rocsparse_index_base_b.private_seg_size, 0
	.set _ZN9rocsparseL22coomvn_segmented_loopsILj256ElaaffEEvlT0_NS_24const_host_device_scalarIT4_EEPKS1_S6_PKT1_PKT2_PT3_PS1_PS3_21rocsparse_index_base_b.uses_vcc, 1
	.set _ZN9rocsparseL22coomvn_segmented_loopsILj256ElaaffEEvlT0_NS_24const_host_device_scalarIT4_EEPKS1_S6_PKT1_PKT2_PT3_PS1_PS3_21rocsparse_index_base_b.uses_flat_scratch, 0
	.set _ZN9rocsparseL22coomvn_segmented_loopsILj256ElaaffEEvlT0_NS_24const_host_device_scalarIT4_EEPKS1_S6_PKT1_PKT2_PT3_PS1_PS3_21rocsparse_index_base_b.has_dyn_sized_stack, 0
	.set _ZN9rocsparseL22coomvn_segmented_loopsILj256ElaaffEEvlT0_NS_24const_host_device_scalarIT4_EEPKS1_S6_PKT1_PKT2_PT3_PS1_PS3_21rocsparse_index_base_b.has_recursion, 0
	.set _ZN9rocsparseL22coomvn_segmented_loopsILj256ElaaffEEvlT0_NS_24const_host_device_scalarIT4_EEPKS1_S6_PKT1_PKT2_PT3_PS1_PS3_21rocsparse_index_base_b.has_indirect_call, 0
	.section	.AMDGPU.csdata,"",@progbits
; Kernel info:
; codeLenInByte = 2820
; TotalNumSgprs: 40
; NumVgprs: 34
; ScratchSize: 0
; MemoryBound: 1
; FloatMode: 240
; IeeeMode: 1
; LDSByteSize: 3072 bytes/workgroup (compile time only)
; SGPRBlocks: 0
; VGPRBlocks: 2
; NumSGPRsForWavesPerEU: 40
; NumVGPRsForWavesPerEU: 34
; NamedBarCnt: 0
; Occupancy: 16
; WaveLimiterHint : 1
; COMPUTE_PGM_RSRC2:SCRATCH_EN: 0
; COMPUTE_PGM_RSRC2:USER_SGPR: 2
; COMPUTE_PGM_RSRC2:TRAP_HANDLER: 0
; COMPUTE_PGM_RSRC2:TGID_X_EN: 1
; COMPUTE_PGM_RSRC2:TGID_Y_EN: 0
; COMPUTE_PGM_RSRC2:TGID_Z_EN: 0
; COMPUTE_PGM_RSRC2:TIDIG_COMP_CNT: 0
	.section	.text._ZN9rocsparseL13coomvt_kernelILj1024ElaaffEEv20rocsparse_operation_lNS_24const_host_device_scalarIT4_EEPKT0_S7_PKT1_PKT2_PT3_21rocsparse_index_base_b,"axG",@progbits,_ZN9rocsparseL13coomvt_kernelILj1024ElaaffEEv20rocsparse_operation_lNS_24const_host_device_scalarIT4_EEPKT0_S7_PKT1_PKT2_PT3_21rocsparse_index_base_b,comdat
	.globl	_ZN9rocsparseL13coomvt_kernelILj1024ElaaffEEv20rocsparse_operation_lNS_24const_host_device_scalarIT4_EEPKT0_S7_PKT1_PKT2_PT3_21rocsparse_index_base_b ; -- Begin function _ZN9rocsparseL13coomvt_kernelILj1024ElaaffEEv20rocsparse_operation_lNS_24const_host_device_scalarIT4_EEPKT0_S7_PKT1_PKT2_PT3_21rocsparse_index_base_b
	.p2align	8
	.type	_ZN9rocsparseL13coomvt_kernelILj1024ElaaffEEv20rocsparse_operation_lNS_24const_host_device_scalarIT4_EEPKT0_S7_PKT1_PKT2_PT3_21rocsparse_index_base_b,@function
_ZN9rocsparseL13coomvt_kernelILj1024ElaaffEEv20rocsparse_operation_lNS_24const_host_device_scalarIT4_EEPKT0_S7_PKT1_PKT2_PT3_21rocsparse_index_base_b: ; @_ZN9rocsparseL13coomvt_kernelILj1024ElaaffEEv20rocsparse_operation_lNS_24const_host_device_scalarIT4_EEPKT0_S7_PKT1_PKT2_PT3_21rocsparse_index_base_b
; %bb.0:
	s_clause 0x1
	s_load_b64 s[2:3], s[0:1], 0x40
	s_load_b128 s[4:7], s[0:1], 0x8
	s_wait_kmcnt 0x0
	s_bitcmp1_b32 s3, 0
	s_cselect_b32 s3, -1, 0
	s_delay_alu instid0(SALU_CYCLE_1)
	s_and_b32 vcc_lo, exec_lo, s3
	s_cbranch_vccnz .LBB57_2
; %bb.1:
	s_load_b32 s6, s[6:7], 0x0
.LBB57_2:
	s_wait_kmcnt 0x0
	s_cmp_eq_f32 s6, 0
	s_cbranch_scc1 .LBB57_5
; %bb.3:
	s_load_b32 s3, s[0:1], 0x54
	s_bfe_u32 s7, ttmp6, 0x4000c
	s_and_b32 s8, ttmp6, 15
	s_add_co_i32 s7, s7, 1
	s_getreg_b32 s9, hwreg(HW_REG_IB_STS2, 6, 4)
	s_mul_i32 s7, ttmp9, s7
	v_mov_b32_e32 v1, 0
	s_add_co_i32 s8, s8, s7
	s_wait_kmcnt 0x0
	s_and_b32 s3, s3, 0xffff
	s_cmp_eq_u32 s9, 0
	s_cselect_b32 s7, ttmp9, s8
	s_delay_alu instid0(SALU_CYCLE_1) | instskip(SKIP_1) | instid1(VALU_DEP_1)
	v_mad_u32 v0, s7, s3, v0
	s_mov_b32 s3, exec_lo
	v_cmpx_gt_i64_e64 s[4:5], v[0:1]
	s_cbranch_execz .LBB57_5
; %bb.4:
	s_load_b256 s[8:15], s[0:1], 0x18
	v_lshlrev_b64_e32 v[2:3], 3, v[0:1]
	s_mov_b32 s3, 0
	s_wait_xcnt 0x0
	s_load_b64 s[0:1], s[0:1], 0x38
	s_wait_kmcnt 0x0
	s_delay_alu instid0(VALU_DEP_1)
	v_add_nc_u64_e32 v[4:5], s[8:9], v[2:3]
	v_add_nc_u64_e32 v[0:1], s[12:13], v[0:1]
	;; [unrolled: 1-line block ×3, first 2 shown]
	global_load_b64 v[4:5], v[4:5], off
	s_wait_loadcnt 0x0
	v_sub_nc_u64_e64 v[4:5], v[4:5], s[2:3]
	s_delay_alu instid0(VALU_DEP_1)
	v_add_nc_u64_e32 v[4:5], s[14:15], v[4:5]
	global_load_i8 v8, v[0:1], off
	global_load_b64 v[6:7], v[2:3], off
	global_load_i8 v9, v[4:5], off
	s_wait_loadcnt 0x2
	s_wait_xcnt 0x1
	v_cvt_f32_i32_e32 v2, v8
	s_wait_loadcnt 0x1
	v_sub_nc_u64_e64 v[0:1], v[6:7], s[2:3]
	s_wait_loadcnt 0x0
	v_cvt_f32_i32_e32 v3, v9
	v_mul_f32_e32 v2, s6, v2
	s_delay_alu instid0(VALU_DEP_3) | instskip(NEXT) | instid1(VALU_DEP_2)
	v_lshl_add_u64 v[0:1], v[0:1], 2, s[0:1]
	v_mul_f32_e32 v2, v2, v3
	global_atomic_add_f32 v[0:1], v2, off scope:SCOPE_DEV
.LBB57_5:
	s_endpgm
	.section	.rodata,"a",@progbits
	.p2align	6, 0x0
	.amdhsa_kernel _ZN9rocsparseL13coomvt_kernelILj1024ElaaffEEv20rocsparse_operation_lNS_24const_host_device_scalarIT4_EEPKT0_S7_PKT1_PKT2_PT3_21rocsparse_index_base_b
		.amdhsa_group_segment_fixed_size 0
		.amdhsa_private_segment_fixed_size 0
		.amdhsa_kernarg_size 328
		.amdhsa_user_sgpr_count 2
		.amdhsa_user_sgpr_dispatch_ptr 0
		.amdhsa_user_sgpr_queue_ptr 0
		.amdhsa_user_sgpr_kernarg_segment_ptr 1
		.amdhsa_user_sgpr_dispatch_id 0
		.amdhsa_user_sgpr_kernarg_preload_length 0
		.amdhsa_user_sgpr_kernarg_preload_offset 0
		.amdhsa_user_sgpr_private_segment_size 0
		.amdhsa_wavefront_size32 1
		.amdhsa_uses_dynamic_stack 0
		.amdhsa_enable_private_segment 0
		.amdhsa_system_sgpr_workgroup_id_x 1
		.amdhsa_system_sgpr_workgroup_id_y 0
		.amdhsa_system_sgpr_workgroup_id_z 0
		.amdhsa_system_sgpr_workgroup_info 0
		.amdhsa_system_vgpr_workitem_id 0
		.amdhsa_next_free_vgpr 10
		.amdhsa_next_free_sgpr 16
		.amdhsa_named_barrier_count 0
		.amdhsa_reserve_vcc 1
		.amdhsa_float_round_mode_32 0
		.amdhsa_float_round_mode_16_64 0
		.amdhsa_float_denorm_mode_32 3
		.amdhsa_float_denorm_mode_16_64 3
		.amdhsa_fp16_overflow 0
		.amdhsa_memory_ordered 1
		.amdhsa_forward_progress 1
		.amdhsa_inst_pref_size 3
		.amdhsa_round_robin_scheduling 0
		.amdhsa_exception_fp_ieee_invalid_op 0
		.amdhsa_exception_fp_denorm_src 0
		.amdhsa_exception_fp_ieee_div_zero 0
		.amdhsa_exception_fp_ieee_overflow 0
		.amdhsa_exception_fp_ieee_underflow 0
		.amdhsa_exception_fp_ieee_inexact 0
		.amdhsa_exception_int_div_zero 0
	.end_amdhsa_kernel
	.section	.text._ZN9rocsparseL13coomvt_kernelILj1024ElaaffEEv20rocsparse_operation_lNS_24const_host_device_scalarIT4_EEPKT0_S7_PKT1_PKT2_PT3_21rocsparse_index_base_b,"axG",@progbits,_ZN9rocsparseL13coomvt_kernelILj1024ElaaffEEv20rocsparse_operation_lNS_24const_host_device_scalarIT4_EEPKT0_S7_PKT1_PKT2_PT3_21rocsparse_index_base_b,comdat
.Lfunc_end57:
	.size	_ZN9rocsparseL13coomvt_kernelILj1024ElaaffEEv20rocsparse_operation_lNS_24const_host_device_scalarIT4_EEPKT0_S7_PKT1_PKT2_PT3_21rocsparse_index_base_b, .Lfunc_end57-_ZN9rocsparseL13coomvt_kernelILj1024ElaaffEEv20rocsparse_operation_lNS_24const_host_device_scalarIT4_EEPKT0_S7_PKT1_PKT2_PT3_21rocsparse_index_base_b
                                        ; -- End function
	.set _ZN9rocsparseL13coomvt_kernelILj1024ElaaffEEv20rocsparse_operation_lNS_24const_host_device_scalarIT4_EEPKT0_S7_PKT1_PKT2_PT3_21rocsparse_index_base_b.num_vgpr, 10
	.set _ZN9rocsparseL13coomvt_kernelILj1024ElaaffEEv20rocsparse_operation_lNS_24const_host_device_scalarIT4_EEPKT0_S7_PKT1_PKT2_PT3_21rocsparse_index_base_b.num_agpr, 0
	.set _ZN9rocsparseL13coomvt_kernelILj1024ElaaffEEv20rocsparse_operation_lNS_24const_host_device_scalarIT4_EEPKT0_S7_PKT1_PKT2_PT3_21rocsparse_index_base_b.numbered_sgpr, 16
	.set _ZN9rocsparseL13coomvt_kernelILj1024ElaaffEEv20rocsparse_operation_lNS_24const_host_device_scalarIT4_EEPKT0_S7_PKT1_PKT2_PT3_21rocsparse_index_base_b.num_named_barrier, 0
	.set _ZN9rocsparseL13coomvt_kernelILj1024ElaaffEEv20rocsparse_operation_lNS_24const_host_device_scalarIT4_EEPKT0_S7_PKT1_PKT2_PT3_21rocsparse_index_base_b.private_seg_size, 0
	.set _ZN9rocsparseL13coomvt_kernelILj1024ElaaffEEv20rocsparse_operation_lNS_24const_host_device_scalarIT4_EEPKT0_S7_PKT1_PKT2_PT3_21rocsparse_index_base_b.uses_vcc, 1
	.set _ZN9rocsparseL13coomvt_kernelILj1024ElaaffEEv20rocsparse_operation_lNS_24const_host_device_scalarIT4_EEPKT0_S7_PKT1_PKT2_PT3_21rocsparse_index_base_b.uses_flat_scratch, 0
	.set _ZN9rocsparseL13coomvt_kernelILj1024ElaaffEEv20rocsparse_operation_lNS_24const_host_device_scalarIT4_EEPKT0_S7_PKT1_PKT2_PT3_21rocsparse_index_base_b.has_dyn_sized_stack, 0
	.set _ZN9rocsparseL13coomvt_kernelILj1024ElaaffEEv20rocsparse_operation_lNS_24const_host_device_scalarIT4_EEPKT0_S7_PKT1_PKT2_PT3_21rocsparse_index_base_b.has_recursion, 0
	.set _ZN9rocsparseL13coomvt_kernelILj1024ElaaffEEv20rocsparse_operation_lNS_24const_host_device_scalarIT4_EEPKT0_S7_PKT1_PKT2_PT3_21rocsparse_index_base_b.has_indirect_call, 0
	.section	.AMDGPU.csdata,"",@progbits
; Kernel info:
; codeLenInByte = 336
; TotalNumSgprs: 18
; NumVgprs: 10
; ScratchSize: 0
; MemoryBound: 0
; FloatMode: 240
; IeeeMode: 1
; LDSByteSize: 0 bytes/workgroup (compile time only)
; SGPRBlocks: 0
; VGPRBlocks: 0
; NumSGPRsForWavesPerEU: 18
; NumVGPRsForWavesPerEU: 10
; NamedBarCnt: 0
; Occupancy: 16
; WaveLimiterHint : 1
; COMPUTE_PGM_RSRC2:SCRATCH_EN: 0
; COMPUTE_PGM_RSRC2:USER_SGPR: 2
; COMPUTE_PGM_RSRC2:TRAP_HANDLER: 0
; COMPUTE_PGM_RSRC2:TGID_X_EN: 1
; COMPUTE_PGM_RSRC2:TGID_Y_EN: 0
; COMPUTE_PGM_RSRC2:TGID_Z_EN: 0
; COMPUTE_PGM_RSRC2:TIDIG_COMP_CNT: 0
	.section	.text._ZN9rocsparseL19coomvn_atomic_loopsILj256ELj1ElaaffEEvlNS_24const_host_device_scalarIT5_EEPKT1_S6_PKT2_PKT3_PT4_21rocsparse_index_base_b,"axG",@progbits,_ZN9rocsparseL19coomvn_atomic_loopsILj256ELj1ElaaffEEvlNS_24const_host_device_scalarIT5_EEPKT1_S6_PKT2_PKT3_PT4_21rocsparse_index_base_b,comdat
	.globl	_ZN9rocsparseL19coomvn_atomic_loopsILj256ELj1ElaaffEEvlNS_24const_host_device_scalarIT5_EEPKT1_S6_PKT2_PKT3_PT4_21rocsparse_index_base_b ; -- Begin function _ZN9rocsparseL19coomvn_atomic_loopsILj256ELj1ElaaffEEvlNS_24const_host_device_scalarIT5_EEPKT1_S6_PKT2_PKT3_PT4_21rocsparse_index_base_b
	.p2align	8
	.type	_ZN9rocsparseL19coomvn_atomic_loopsILj256ELj1ElaaffEEvlNS_24const_host_device_scalarIT5_EEPKT1_S6_PKT2_PKT3_PT4_21rocsparse_index_base_b,@function
_ZN9rocsparseL19coomvn_atomic_loopsILj256ELj1ElaaffEEvlNS_24const_host_device_scalarIT5_EEPKT1_S6_PKT2_PKT3_PT4_21rocsparse_index_base_b: ; @_ZN9rocsparseL19coomvn_atomic_loopsILj256ELj1ElaaffEEvlNS_24const_host_device_scalarIT5_EEPKT1_S6_PKT2_PKT3_PT4_21rocsparse_index_base_b
; %bb.0:
	s_clause 0x1
	s_load_b64 s[2:3], s[0:1], 0x38
	s_load_b128 s[4:7], s[0:1], 0x0
	s_wait_kmcnt 0x0
	s_bitcmp1_b32 s3, 0
	s_cselect_b32 s3, -1, 0
	s_delay_alu instid0(SALU_CYCLE_1)
	s_and_b32 vcc_lo, exec_lo, s3
	s_cbranch_vccnz .LBB58_2
; %bb.1:
	s_load_b32 s6, s[6:7], 0x0
.LBB58_2:
	s_wait_kmcnt 0x0
	s_cmp_eq_f32 s6, 0
	s_cbranch_scc1 .LBB58_42
; %bb.3:
	s_bfe_u32 s3, ttmp6, 0x4000c
	s_and_b32 s7, ttmp6, 15
	s_add_co_i32 s3, s3, 1
	s_getreg_b32 s8, hwreg(HW_REG_IB_STS2, 6, 4)
	s_mul_i32 s3, ttmp9, s3
	v_mov_b32_e32 v3, 0
	s_add_co_i32 s7, s7, s3
	s_cmp_eq_u32 s8, 0
	v_mov_b64_e32 v[4:5], -1
	s_cselect_b32 s3, ttmp9, s7
	s_delay_alu instid0(SALU_CYCLE_1) | instskip(NEXT) | instid1(VALU_DEP_1)
	v_lshl_or_b32 v2, s3, 8, v0
	v_cmp_gt_i64_e32 vcc_lo, s[4:5], v[2:3]
	s_and_saveexec_b32 s4, vcc_lo
	s_cbranch_execz .LBB58_5
; %bb.4:
	s_load_b256 s[8:15], s[0:1], 0x10
	v_lshlrev_b64_e32 v[4:5], 3, v[2:3]
	s_mov_b32 s3, 0
	s_wait_kmcnt 0x0
	s_delay_alu instid0(VALU_DEP_1)
	v_add_nc_u64_e32 v[6:7], s[10:11], v[4:5]
	v_add_nc_u64_e32 v[2:3], s[12:13], v[2:3]
	;; [unrolled: 1-line block ×3, first 2 shown]
	global_load_b64 v[6:7], v[6:7], off th:TH_LOAD_NT
	s_wait_loadcnt 0x0
	v_sub_nc_u64_e64 v[6:7], v[6:7], s[2:3]
	s_delay_alu instid0(VALU_DEP_1)
	v_add_nc_u64_e32 v[6:7], s[14:15], v[6:7]
	global_load_i8 v1, v[2:3], off th:TH_LOAD_NT
	global_load_i8 v10, v[6:7], off
	global_load_b64 v[8:9], v[4:5], off th:TH_LOAD_NT
	s_wait_loadcnt 0x2
	v_cvt_f32_i32_e32 v1, v1
	s_wait_loadcnt 0x1
	v_cvt_f32_i32_e32 v2, v10
	s_wait_loadcnt 0x0
	v_sub_nc_u64_e64 v[4:5], v[8:9], s[2:3]
	s_delay_alu instid0(VALU_DEP_2)
	v_mul_f32_e32 v3, v1, v2
.LBB58_5:
	s_or_b32 exec_lo, exec_lo, s4
	v_dual_lshlrev_b32 v6, 2, v0 :: v_dual_lshlrev_b32 v1, 3, v0
	s_mov_b32 s2, exec_lo
	ds_store_b64 v1, v[4:5]
	ds_store_b32 v6, v3 offset:2048
	v_or_b32_e32 v2, 0x800, v6
	s_wait_dscnt 0x0
	s_barrier_signal -1
	s_barrier_wait -1
	v_cmpx_ne_u32_e32 0, v0
	s_cbranch_execz .LBB58_9
; %bb.6:
	v_add_nc_u32_e32 v6, -8, v1
	s_mov_b32 s3, exec_lo
	ds_load_b64 v[6:7], v6
	s_wait_dscnt 0x0
	v_cmpx_eq_u64_e64 v[4:5], v[6:7]
	s_cbranch_execz .LBB58_8
; %bb.7:
	v_add_nc_u32_e32 v6, -4, v2
	ds_load_b32 v6, v6
	s_wait_dscnt 0x0
	v_add_f32_e32 v3, v3, v6
.LBB58_8:
	s_or_b32 exec_lo, exec_lo, s3
.LBB58_9:
	s_delay_alu instid0(SALU_CYCLE_1) | instskip(NEXT) | instid1(SALU_CYCLE_1)
	s_or_b32 exec_lo, exec_lo, s2
	s_mov_b32 s2, exec_lo
	s_barrier_signal -1
	s_barrier_wait -1
	ds_store_b32 v2, v3
	s_wait_dscnt 0x0
	s_barrier_signal -1
	s_barrier_wait -1
	v_cmpx_lt_u32_e32 1, v0
	s_cbranch_execz .LBB58_13
; %bb.10:
	v_add_nc_u32_e32 v6, -16, v1
	s_mov_b32 s3, exec_lo
	ds_load_b64 v[6:7], v6
	s_wait_dscnt 0x0
	v_cmpx_eq_u64_e64 v[4:5], v[6:7]
	s_cbranch_execz .LBB58_12
; %bb.11:
	v_add_nc_u32_e32 v6, -8, v2
	ds_load_b32 v6, v6
	s_wait_dscnt 0x0
	v_add_f32_e32 v3, v3, v6
.LBB58_12:
	s_or_b32 exec_lo, exec_lo, s3
.LBB58_13:
	s_delay_alu instid0(SALU_CYCLE_1) | instskip(NEXT) | instid1(SALU_CYCLE_1)
	s_or_b32 exec_lo, exec_lo, s2
	s_mov_b32 s2, exec_lo
	s_barrier_signal -1
	s_barrier_wait -1
	ds_store_b32 v2, v3
	s_wait_dscnt 0x0
	s_barrier_signal -1
	s_barrier_wait -1
	v_cmpx_lt_u32_e32 3, v0
	s_cbranch_execz .LBB58_17
; %bb.14:
	v_subrev_nc_u32_e32 v6, 32, v1
	s_mov_b32 s3, exec_lo
	ds_load_b64 v[6:7], v6
	s_wait_dscnt 0x0
	v_cmpx_eq_u64_e64 v[4:5], v[6:7]
	s_cbranch_execz .LBB58_16
; %bb.15:
	v_add_nc_u32_e32 v6, -16, v2
	ds_load_b32 v6, v6
	s_wait_dscnt 0x0
	v_add_f32_e32 v3, v3, v6
.LBB58_16:
	s_or_b32 exec_lo, exec_lo, s3
.LBB58_17:
	s_delay_alu instid0(SALU_CYCLE_1) | instskip(NEXT) | instid1(SALU_CYCLE_1)
	s_or_b32 exec_lo, exec_lo, s2
	s_mov_b32 s2, exec_lo
	s_barrier_signal -1
	s_barrier_wait -1
	ds_store_b32 v2, v3
	s_wait_dscnt 0x0
	s_barrier_signal -1
	s_barrier_wait -1
	v_cmpx_lt_u32_e32 7, v0
	s_cbranch_execz .LBB58_21
; %bb.18:
	v_subrev_nc_u32_e32 v6, 64, v1
	s_mov_b32 s3, exec_lo
	ds_load_b64 v[6:7], v6
	s_wait_dscnt 0x0
	v_cmpx_eq_u64_e64 v[4:5], v[6:7]
	s_cbranch_execz .LBB58_20
; %bb.19:
	v_subrev_nc_u32_e32 v6, 32, v2
	ds_load_b32 v6, v6
	s_wait_dscnt 0x0
	v_add_f32_e32 v3, v3, v6
.LBB58_20:
	s_or_b32 exec_lo, exec_lo, s3
.LBB58_21:
	s_delay_alu instid0(SALU_CYCLE_1) | instskip(NEXT) | instid1(SALU_CYCLE_1)
	s_or_b32 exec_lo, exec_lo, s2
	s_mov_b32 s2, exec_lo
	s_barrier_signal -1
	s_barrier_wait -1
	ds_store_b32 v2, v3
	s_wait_dscnt 0x0
	s_barrier_signal -1
	s_barrier_wait -1
	v_cmpx_lt_u32_e32 15, v0
	s_cbranch_execz .LBB58_25
; %bb.22:
	v_add_nc_u32_e32 v6, 0xffffff80, v1
	s_mov_b32 s3, exec_lo
	ds_load_b64 v[6:7], v6
	s_wait_dscnt 0x0
	v_cmpx_eq_u64_e64 v[4:5], v[6:7]
	s_cbranch_execz .LBB58_24
; %bb.23:
	v_subrev_nc_u32_e32 v6, 64, v2
	ds_load_b32 v6, v6
	s_wait_dscnt 0x0
	v_add_f32_e32 v3, v3, v6
.LBB58_24:
	s_or_b32 exec_lo, exec_lo, s3
.LBB58_25:
	s_delay_alu instid0(SALU_CYCLE_1) | instskip(NEXT) | instid1(SALU_CYCLE_1)
	s_or_b32 exec_lo, exec_lo, s2
	s_mov_b32 s2, exec_lo
	s_barrier_signal -1
	s_barrier_wait -1
	ds_store_b32 v2, v3
	s_wait_dscnt 0x0
	s_barrier_signal -1
	s_barrier_wait -1
	v_cmpx_lt_u32_e32 31, v0
	s_cbranch_execz .LBB58_29
; %bb.26:
	v_add_nc_u32_e32 v6, 0xffffff00, v1
	s_mov_b32 s3, exec_lo
	ds_load_b64 v[6:7], v6
	s_wait_dscnt 0x0
	v_cmpx_eq_u64_e64 v[4:5], v[6:7]
	s_cbranch_execz .LBB58_28
; %bb.27:
	v_add_nc_u32_e32 v6, 0xffffff80, v2
	ds_load_b32 v6, v6
	s_wait_dscnt 0x0
	v_add_f32_e32 v3, v3, v6
.LBB58_28:
	s_or_b32 exec_lo, exec_lo, s3
.LBB58_29:
	s_delay_alu instid0(SALU_CYCLE_1) | instskip(NEXT) | instid1(SALU_CYCLE_1)
	s_or_b32 exec_lo, exec_lo, s2
	s_mov_b32 s2, exec_lo
	s_barrier_signal -1
	s_barrier_wait -1
	ds_store_b32 v2, v3
	s_wait_dscnt 0x0
	s_barrier_signal -1
	s_barrier_wait -1
	v_cmpx_lt_u32_e32 63, v0
	s_cbranch_execz .LBB58_33
; %bb.30:
	v_add_nc_u32_e32 v6, 0xfffffe00, v1
	s_mov_b32 s3, exec_lo
	ds_load_b64 v[6:7], v6
	s_wait_dscnt 0x0
	v_cmpx_eq_u64_e64 v[4:5], v[6:7]
	s_cbranch_execz .LBB58_32
; %bb.31:
	v_add_nc_u32_e32 v6, 0xffffff00, v2
	ds_load_b32 v6, v6
	s_wait_dscnt 0x0
	v_add_f32_e32 v3, v3, v6
.LBB58_32:
	s_or_b32 exec_lo, exec_lo, s3
.LBB58_33:
	s_delay_alu instid0(SALU_CYCLE_1) | instskip(NEXT) | instid1(SALU_CYCLE_1)
	s_or_b32 exec_lo, exec_lo, s2
	s_mov_b32 s2, exec_lo
	s_barrier_signal -1
	s_barrier_wait -1
	ds_store_b32 v2, v3
	s_wait_dscnt 0x0
	s_barrier_signal -1
	s_barrier_wait -1
	v_cmpx_lt_u32_e32 0x7f, v0
	s_cbranch_execz .LBB58_37
; %bb.34:
	v_add_nc_u32_e32 v6, 0xfffffc00, v1
	s_mov_b32 s3, exec_lo
	ds_load_b64 v[6:7], v6
	s_wait_dscnt 0x0
	v_cmpx_eq_u64_e64 v[4:5], v[6:7]
	s_cbranch_execz .LBB58_36
; %bb.35:
	v_add_nc_u32_e32 v6, 0xfffffe00, v2
	ds_load_b32 v6, v6
	s_wait_dscnt 0x0
	v_add_f32_e32 v3, v3, v6
.LBB58_36:
	s_or_b32 exec_lo, exec_lo, s3
.LBB58_37:
	s_delay_alu instid0(SALU_CYCLE_1)
	s_or_b32 exec_lo, exec_lo, s2
	s_load_b64 s[2:3], s[0:1], 0x30
	s_wait_xcnt 0x0
	s_mov_b32 s1, exec_lo
	s_barrier_signal -1
	s_barrier_wait -1
	ds_store_b32 v2, v3
	s_wait_dscnt 0x0
	s_barrier_signal -1
	s_barrier_wait -1
	v_cmpx_gt_u32_e32 0xff, v0
	s_cbranch_execz .LBB58_40
; %bb.38:
	ds_load_b64 v[6:7], v1 offset:8
	v_cmp_lt_i64_e64 s0, -1, v[4:5]
	s_wait_dscnt 0x0
	v_cmp_ne_u64_e32 vcc_lo, v[4:5], v[6:7]
	s_and_b32 s0, s0, vcc_lo
	s_delay_alu instid0(SALU_CYCLE_1)
	s_and_b32 exec_lo, exec_lo, s0
	s_cbranch_execz .LBB58_40
; %bb.39:
	s_wait_kmcnt 0x0
	v_lshl_add_u64 v[6:7], v[4:5], 2, s[2:3]
	v_mul_f32_e32 v1, s6, v3
	global_atomic_add_f32 v[6:7], v1, off scope:SCOPE_DEV
.LBB58_40:
	s_wait_xcnt 0x0
	s_or_b32 exec_lo, exec_lo, s1
	v_cmp_lt_i64_e32 vcc_lo, -1, v[4:5]
	v_cmp_eq_u32_e64 s0, 0xff, v0
	s_and_b32 s0, s0, vcc_lo
	s_delay_alu instid0(SALU_CYCLE_1)
	s_and_saveexec_b32 s1, s0
	s_cbranch_execz .LBB58_42
; %bb.41:
	s_wait_kmcnt 0x0
	v_lshl_add_u64 v[0:1], v[4:5], 2, s[2:3]
	v_mul_f32_e32 v2, s6, v3
	global_atomic_add_f32 v[0:1], v2, off scope:SCOPE_DEV
.LBB58_42:
	s_endpgm
	.section	.rodata,"a",@progbits
	.p2align	6, 0x0
	.amdhsa_kernel _ZN9rocsparseL19coomvn_atomic_loopsILj256ELj1ElaaffEEvlNS_24const_host_device_scalarIT5_EEPKT1_S6_PKT2_PKT3_PT4_21rocsparse_index_base_b
		.amdhsa_group_segment_fixed_size 3072
		.amdhsa_private_segment_fixed_size 0
		.amdhsa_kernarg_size 64
		.amdhsa_user_sgpr_count 2
		.amdhsa_user_sgpr_dispatch_ptr 0
		.amdhsa_user_sgpr_queue_ptr 0
		.amdhsa_user_sgpr_kernarg_segment_ptr 1
		.amdhsa_user_sgpr_dispatch_id 0
		.amdhsa_user_sgpr_kernarg_preload_length 0
		.amdhsa_user_sgpr_kernarg_preload_offset 0
		.amdhsa_user_sgpr_private_segment_size 0
		.amdhsa_wavefront_size32 1
		.amdhsa_uses_dynamic_stack 0
		.amdhsa_enable_private_segment 0
		.amdhsa_system_sgpr_workgroup_id_x 1
		.amdhsa_system_sgpr_workgroup_id_y 0
		.amdhsa_system_sgpr_workgroup_id_z 0
		.amdhsa_system_sgpr_workgroup_info 0
		.amdhsa_system_vgpr_workitem_id 0
		.amdhsa_next_free_vgpr 11
		.amdhsa_next_free_sgpr 16
		.amdhsa_named_barrier_count 0
		.amdhsa_reserve_vcc 1
		.amdhsa_float_round_mode_32 0
		.amdhsa_float_round_mode_16_64 0
		.amdhsa_float_denorm_mode_32 3
		.amdhsa_float_denorm_mode_16_64 3
		.amdhsa_fp16_overflow 0
		.amdhsa_memory_ordered 1
		.amdhsa_forward_progress 1
		.amdhsa_inst_pref_size 11
		.amdhsa_round_robin_scheduling 0
		.amdhsa_exception_fp_ieee_invalid_op 0
		.amdhsa_exception_fp_denorm_src 0
		.amdhsa_exception_fp_ieee_div_zero 0
		.amdhsa_exception_fp_ieee_overflow 0
		.amdhsa_exception_fp_ieee_underflow 0
		.amdhsa_exception_fp_ieee_inexact 0
		.amdhsa_exception_int_div_zero 0
	.end_amdhsa_kernel
	.section	.text._ZN9rocsparseL19coomvn_atomic_loopsILj256ELj1ElaaffEEvlNS_24const_host_device_scalarIT5_EEPKT1_S6_PKT2_PKT3_PT4_21rocsparse_index_base_b,"axG",@progbits,_ZN9rocsparseL19coomvn_atomic_loopsILj256ELj1ElaaffEEvlNS_24const_host_device_scalarIT5_EEPKT1_S6_PKT2_PKT3_PT4_21rocsparse_index_base_b,comdat
.Lfunc_end58:
	.size	_ZN9rocsparseL19coomvn_atomic_loopsILj256ELj1ElaaffEEvlNS_24const_host_device_scalarIT5_EEPKT1_S6_PKT2_PKT3_PT4_21rocsparse_index_base_b, .Lfunc_end58-_ZN9rocsparseL19coomvn_atomic_loopsILj256ELj1ElaaffEEvlNS_24const_host_device_scalarIT5_EEPKT1_S6_PKT2_PKT3_PT4_21rocsparse_index_base_b
                                        ; -- End function
	.set _ZN9rocsparseL19coomvn_atomic_loopsILj256ELj1ElaaffEEvlNS_24const_host_device_scalarIT5_EEPKT1_S6_PKT2_PKT3_PT4_21rocsparse_index_base_b.num_vgpr, 11
	.set _ZN9rocsparseL19coomvn_atomic_loopsILj256ELj1ElaaffEEvlNS_24const_host_device_scalarIT5_EEPKT1_S6_PKT2_PKT3_PT4_21rocsparse_index_base_b.num_agpr, 0
	.set _ZN9rocsparseL19coomvn_atomic_loopsILj256ELj1ElaaffEEvlNS_24const_host_device_scalarIT5_EEPKT1_S6_PKT2_PKT3_PT4_21rocsparse_index_base_b.numbered_sgpr, 16
	.set _ZN9rocsparseL19coomvn_atomic_loopsILj256ELj1ElaaffEEvlNS_24const_host_device_scalarIT5_EEPKT1_S6_PKT2_PKT3_PT4_21rocsparse_index_base_b.num_named_barrier, 0
	.set _ZN9rocsparseL19coomvn_atomic_loopsILj256ELj1ElaaffEEvlNS_24const_host_device_scalarIT5_EEPKT1_S6_PKT2_PKT3_PT4_21rocsparse_index_base_b.private_seg_size, 0
	.set _ZN9rocsparseL19coomvn_atomic_loopsILj256ELj1ElaaffEEvlNS_24const_host_device_scalarIT5_EEPKT1_S6_PKT2_PKT3_PT4_21rocsparse_index_base_b.uses_vcc, 1
	.set _ZN9rocsparseL19coomvn_atomic_loopsILj256ELj1ElaaffEEvlNS_24const_host_device_scalarIT5_EEPKT1_S6_PKT2_PKT3_PT4_21rocsparse_index_base_b.uses_flat_scratch, 0
	.set _ZN9rocsparseL19coomvn_atomic_loopsILj256ELj1ElaaffEEvlNS_24const_host_device_scalarIT5_EEPKT1_S6_PKT2_PKT3_PT4_21rocsparse_index_base_b.has_dyn_sized_stack, 0
	.set _ZN9rocsparseL19coomvn_atomic_loopsILj256ELj1ElaaffEEvlNS_24const_host_device_scalarIT5_EEPKT1_S6_PKT2_PKT3_PT4_21rocsparse_index_base_b.has_recursion, 0
	.set _ZN9rocsparseL19coomvn_atomic_loopsILj256ELj1ElaaffEEvlNS_24const_host_device_scalarIT5_EEPKT1_S6_PKT2_PKT3_PT4_21rocsparse_index_base_b.has_indirect_call, 0
	.section	.AMDGPU.csdata,"",@progbits
; Kernel info:
; codeLenInByte = 1356
; TotalNumSgprs: 18
; NumVgprs: 11
; ScratchSize: 0
; MemoryBound: 0
; FloatMode: 240
; IeeeMode: 1
; LDSByteSize: 3072 bytes/workgroup (compile time only)
; SGPRBlocks: 0
; VGPRBlocks: 0
; NumSGPRsForWavesPerEU: 18
; NumVGPRsForWavesPerEU: 11
; NamedBarCnt: 0
; Occupancy: 16
; WaveLimiterHint : 1
; COMPUTE_PGM_RSRC2:SCRATCH_EN: 0
; COMPUTE_PGM_RSRC2:USER_SGPR: 2
; COMPUTE_PGM_RSRC2:TRAP_HANDLER: 0
; COMPUTE_PGM_RSRC2:TGID_X_EN: 1
; COMPUTE_PGM_RSRC2:TGID_Y_EN: 0
; COMPUTE_PGM_RSRC2:TGID_Z_EN: 0
; COMPUTE_PGM_RSRC2:TIDIG_COMP_CNT: 0
	.section	.text._ZN9rocsparseL19coomvn_atomic_loopsILj256ELj2ElaaffEEvlNS_24const_host_device_scalarIT5_EEPKT1_S6_PKT2_PKT3_PT4_21rocsparse_index_base_b,"axG",@progbits,_ZN9rocsparseL19coomvn_atomic_loopsILj256ELj2ElaaffEEvlNS_24const_host_device_scalarIT5_EEPKT1_S6_PKT2_PKT3_PT4_21rocsparse_index_base_b,comdat
	.globl	_ZN9rocsparseL19coomvn_atomic_loopsILj256ELj2ElaaffEEvlNS_24const_host_device_scalarIT5_EEPKT1_S6_PKT2_PKT3_PT4_21rocsparse_index_base_b ; -- Begin function _ZN9rocsparseL19coomvn_atomic_loopsILj256ELj2ElaaffEEvlNS_24const_host_device_scalarIT5_EEPKT1_S6_PKT2_PKT3_PT4_21rocsparse_index_base_b
	.p2align	8
	.type	_ZN9rocsparseL19coomvn_atomic_loopsILj256ELj2ElaaffEEvlNS_24const_host_device_scalarIT5_EEPKT1_S6_PKT2_PKT3_PT4_21rocsparse_index_base_b,@function
_ZN9rocsparseL19coomvn_atomic_loopsILj256ELj2ElaaffEEvlNS_24const_host_device_scalarIT5_EEPKT1_S6_PKT2_PKT3_PT4_21rocsparse_index_base_b: ; @_ZN9rocsparseL19coomvn_atomic_loopsILj256ELj2ElaaffEEvlNS_24const_host_device_scalarIT5_EEPKT1_S6_PKT2_PKT3_PT4_21rocsparse_index_base_b
; %bb.0:
	s_clause 0x1
	s_load_b64 s[24:25], s[0:1], 0x38
	s_load_b128 s[20:23], s[0:1], 0x0
	s_wait_kmcnt 0x0
	s_bitcmp1_b32 s25, 0
	s_cselect_b32 s2, -1, 0
	s_delay_alu instid0(SALU_CYCLE_1)
	s_and_b32 vcc_lo, exec_lo, s2
	s_cbranch_vccnz .LBB59_2
; %bb.1:
	s_load_b32 s22, s[22:23], 0x0
.LBB59_2:
	s_wait_kmcnt 0x0
	s_cmp_eq_f32 s22, 0
	s_cbranch_scc1 .LBB59_88
; %bb.3:
	s_load_b256 s[12:19], s[0:1], 0x10
	s_bfe_u32 s2, ttmp6, 0x4000c
	s_and_b32 s3, ttmp6, 15
	s_add_co_i32 s2, s2, 1
	s_getreg_b32 s4, hwreg(HW_REG_IB_STS2, 6, 4)
	s_mul_i32 s2, ttmp9, s2
	v_mov_b32_e32 v7, 0
	s_add_co_i32 s3, s3, s2
	s_cmp_eq_u32 s4, 0
	v_mov_b64_e32 v[8:9], -1
	s_cselect_b32 s2, ttmp9, s3
	v_mov_b32_e32 v19, v7
	v_lshl_or_b32 v6, s2, 9, v0
	s_mov_b32 s2, exec_lo
	s_delay_alu instid0(VALU_DEP_1)
	v_lshlrev_b64_e32 v[4:5], 3, v[6:7]
	s_wait_kmcnt 0x0
	v_add_nc_u64_e32 v[2:3], s[16:17], v[6:7]
	v_cmpx_gt_i64_e64 s[20:21], v[6:7]
	s_cbranch_execz .LBB59_5
; %bb.4:
	s_delay_alu instid0(VALU_DEP_3)
	v_add_nc_u64_e32 v[8:9], s[14:15], v[4:5]
	s_mov_b32 s25, 0
	v_add_nc_u64_e32 v[10:11], s[12:13], v[4:5]
	global_load_b64 v[8:9], v[8:9], off th:TH_LOAD_NT
	s_wait_loadcnt 0x0
	v_sub_nc_u64_e64 v[8:9], v[8:9], s[24:25]
	s_delay_alu instid0(VALU_DEP_1)
	v_add_nc_u64_e32 v[8:9], s[18:19], v[8:9]
	global_load_i8 v1, v[2:3], off th:TH_LOAD_NT
	global_load_i8 v14, v[8:9], off
	global_load_b64 v[12:13], v[10:11], off th:TH_LOAD_NT
	s_wait_loadcnt 0x2
	v_cvt_f32_i32_e32 v1, v1
	s_wait_loadcnt 0x1
	s_wait_xcnt 0x0
	v_cvt_f32_i32_e32 v10, v14
	s_wait_loadcnt 0x0
	v_sub_nc_u64_e64 v[8:9], v[12:13], s[24:25]
	s_delay_alu instid0(VALU_DEP_2)
	v_mul_f32_e32 v19, v1, v10
.LBB59_5:
	s_or_b32 exec_lo, exec_lo, s2
	v_dual_lshlrev_b32 v11, 2, v0 :: v_dual_lshlrev_b32 v1, 3, v0
	v_cmp_ne_u32_e64 s2, 0, v0
	v_cmp_eq_u32_e32 vcc_lo, 0, v0
	ds_store_b64 v1, v[8:9]
	ds_store_b32 v11, v19 offset:2048
	v_or_b32_e32 v10, 0x800, v11
	v_add_nc_u32_e32 v11, -8, v1
	s_wait_dscnt 0x0
	s_barrier_signal -1
	s_barrier_wait -1
	s_and_saveexec_b32 s4, s2
	s_cbranch_execz .LBB59_9
; %bb.6:
	ds_load_b64 v[12:13], v11
	s_mov_b32 s5, exec_lo
	s_wait_dscnt 0x0
	v_cmpx_eq_u64_e64 v[8:9], v[12:13]
	s_cbranch_execz .LBB59_8
; %bb.7:
	v_add_nc_u32_e32 v12, -4, v10
	ds_load_b32 v12, v12
	s_wait_dscnt 0x0
	v_add_f32_e32 v19, v19, v12
.LBB59_8:
	s_or_b32 exec_lo, exec_lo, s5
.LBB59_9:
	s_delay_alu instid0(SALU_CYCLE_1)
	s_or_b32 exec_lo, exec_lo, s4
	v_cmp_lt_u32_e64 s3, 1, v0
	v_add_nc_u32_e32 v12, -16, v1
	s_barrier_signal -1
	s_barrier_wait -1
	ds_store_b32 v10, v19
	s_wait_dscnt 0x0
	s_barrier_signal -1
	s_barrier_wait -1
	s_and_saveexec_b32 s5, s3
	s_cbranch_execz .LBB59_13
; %bb.10:
	ds_load_b64 v[14:15], v12
	s_mov_b32 s6, exec_lo
	s_wait_dscnt 0x0
	v_cmpx_eq_u64_e64 v[8:9], v[14:15]
	s_cbranch_execz .LBB59_12
; %bb.11:
	v_add_nc_u32_e32 v13, -8, v10
	ds_load_b32 v13, v13
	s_wait_dscnt 0x0
	v_add_f32_e32 v19, v19, v13
.LBB59_12:
	s_or_b32 exec_lo, exec_lo, s6
.LBB59_13:
	s_delay_alu instid0(SALU_CYCLE_1)
	s_or_b32 exec_lo, exec_lo, s5
	v_cmp_lt_u32_e64 s4, 3, v0
	v_subrev_nc_u32_e32 v13, 32, v1
	s_barrier_signal -1
	s_barrier_wait -1
	ds_store_b32 v10, v19
	s_wait_dscnt 0x0
	s_barrier_signal -1
	s_barrier_wait -1
	s_and_saveexec_b32 s6, s4
	s_cbranch_execz .LBB59_17
; %bb.14:
	ds_load_b64 v[14:15], v13
	s_mov_b32 s7, exec_lo
	s_wait_dscnt 0x0
	v_cmpx_eq_u64_e64 v[8:9], v[14:15]
	s_cbranch_execz .LBB59_16
; %bb.15:
	v_add_nc_u32_e32 v14, -16, v10
	ds_load_b32 v14, v14
	s_wait_dscnt 0x0
	v_add_f32_e32 v19, v19, v14
.LBB59_16:
	s_or_b32 exec_lo, exec_lo, s7
.LBB59_17:
	s_delay_alu instid0(SALU_CYCLE_1)
	s_or_b32 exec_lo, exec_lo, s6
	v_cmp_lt_u32_e64 s5, 7, v0
	v_subrev_nc_u32_e32 v14, 64, v1
	s_barrier_signal -1
	s_barrier_wait -1
	ds_store_b32 v10, v19
	s_wait_dscnt 0x0
	s_barrier_signal -1
	s_barrier_wait -1
	s_and_saveexec_b32 s7, s5
	s_cbranch_execz .LBB59_21
; %bb.18:
	ds_load_b64 v[16:17], v14
	s_mov_b32 s8, exec_lo
	s_wait_dscnt 0x0
	v_cmpx_eq_u64_e64 v[8:9], v[16:17]
	s_cbranch_execz .LBB59_20
; %bb.19:
	v_subrev_nc_u32_e32 v15, 32, v10
	ds_load_b32 v15, v15
	s_wait_dscnt 0x0
	v_add_f32_e32 v19, v19, v15
.LBB59_20:
	s_or_b32 exec_lo, exec_lo, s8
.LBB59_21:
	s_delay_alu instid0(SALU_CYCLE_1)
	s_or_b32 exec_lo, exec_lo, s7
	v_cmp_lt_u32_e64 s6, 15, v0
	v_add_nc_u32_e32 v15, 0xffffff80, v1
	s_barrier_signal -1
	s_barrier_wait -1
	ds_store_b32 v10, v19
	s_wait_dscnt 0x0
	s_barrier_signal -1
	s_barrier_wait -1
	s_and_saveexec_b32 s8, s6
	s_cbranch_execz .LBB59_25
; %bb.22:
	ds_load_b64 v[16:17], v15
	s_mov_b32 s9, exec_lo
	s_wait_dscnt 0x0
	v_cmpx_eq_u64_e64 v[8:9], v[16:17]
	s_cbranch_execz .LBB59_24
; %bb.23:
	v_subrev_nc_u32_e32 v16, 64, v10
	ds_load_b32 v16, v16
	s_wait_dscnt 0x0
	v_add_f32_e32 v19, v19, v16
.LBB59_24:
	s_or_b32 exec_lo, exec_lo, s9
.LBB59_25:
	s_delay_alu instid0(SALU_CYCLE_1)
	s_or_b32 exec_lo, exec_lo, s8
	v_cmp_lt_u32_e64 s7, 31, v0
	v_add_nc_u32_e32 v16, 0xffffff00, v1
	s_barrier_signal -1
	s_barrier_wait -1
	ds_store_b32 v10, v19
	s_wait_dscnt 0x0
	s_barrier_signal -1
	s_barrier_wait -1
	s_and_saveexec_b32 s9, s7
	s_cbranch_execz .LBB59_29
; %bb.26:
	ds_load_b64 v[20:21], v16
	s_mov_b32 s10, exec_lo
	s_wait_dscnt 0x0
	v_cmpx_eq_u64_e64 v[8:9], v[20:21]
	s_cbranch_execz .LBB59_28
; %bb.27:
	v_add_nc_u32_e32 v17, 0xffffff80, v10
	ds_load_b32 v17, v17
	s_wait_dscnt 0x0
	v_add_f32_e32 v19, v19, v17
.LBB59_28:
	s_or_b32 exec_lo, exec_lo, s10
.LBB59_29:
	s_delay_alu instid0(SALU_CYCLE_1)
	s_or_b32 exec_lo, exec_lo, s9
	v_cmp_lt_u32_e64 s8, 63, v0
	v_add_nc_u32_e32 v17, 0xfffffe00, v1
	s_barrier_signal -1
	s_barrier_wait -1
	ds_store_b32 v10, v19
	s_wait_dscnt 0x0
	s_barrier_signal -1
	s_barrier_wait -1
	s_and_saveexec_b32 s10, s8
	s_cbranch_execz .LBB59_33
; %bb.30:
	ds_load_b64 v[20:21], v17
	s_mov_b32 s11, exec_lo
	s_wait_dscnt 0x0
	v_cmpx_eq_u64_e64 v[8:9], v[20:21]
	s_cbranch_execz .LBB59_32
; %bb.31:
	v_add_nc_u32_e32 v18, 0xffffff00, v10
	ds_load_b32 v18, v18
	s_wait_dscnt 0x0
	v_add_f32_e32 v19, v19, v18
.LBB59_32:
	s_or_b32 exec_lo, exec_lo, s11
.LBB59_33:
	;; [unrolled: 26-line block ×3, first 2 shown]
	s_delay_alu instid0(SALU_CYCLE_1)
	s_or_b32 exec_lo, exec_lo, s11
	s_load_b64 s[16:17], s[0:1], 0x30
	s_wait_xcnt 0x0
	v_cmp_gt_u32_e64 s0, 0xff, v0
	s_barrier_signal -1
	s_barrier_wait -1
	ds_store_b32 v10, v19
	s_wait_dscnt 0x0
	s_barrier_signal -1
	s_barrier_wait -1
	s_and_saveexec_b32 s11, s0
	s_cbranch_execz .LBB59_40
; %bb.38:
	ds_load_b64 v[20:21], v1 offset:8
	v_cmp_lt_i64_e64 s10, -1, v[8:9]
	s_wait_dscnt 0x0
	v_cmp_ne_u64_e64 s1, v[8:9], v[20:21]
	s_and_b32 s1, s10, s1
	s_delay_alu instid0(SALU_CYCLE_1)
	s_and_b32 exec_lo, exec_lo, s1
	s_cbranch_execz .LBB59_40
; %bb.39:
	s_wait_kmcnt 0x0
	v_lshl_add_u64 v[8:9], v[8:9], 2, s[16:17]
	v_mul_f32_e32 v19, s22, v19
	global_atomic_add_f32 v[8:9], v19, off scope:SCOPE_DEV
.LBB59_40:
	s_wait_xcnt 0x0
	s_or_b32 exec_lo, exec_lo, s11
	v_add_nc_u64_e32 v[6:7], 0x100, v[6:7]
	v_mov_b32_e32 v8, 0
	s_delay_alu instid0(VALU_DEP_2)
	v_cmp_gt_i64_e64 s1, s[20:21], v[6:7]
	v_mov_b64_e32 v[6:7], -1
	s_and_saveexec_b32 s10, s1
	s_cbranch_execz .LBB59_42
; %bb.41:
	v_add_nc_u64_e32 v[6:7], s[14:15], v[4:5]
	s_mov_b32 s25, 0
	v_add_nc_u64_e32 v[4:5], s[12:13], v[4:5]
	global_load_b64 v[6:7], v[6:7], off offset:2048 th:TH_LOAD_NT
	s_wait_loadcnt 0x0
	v_sub_nc_u64_e64 v[6:7], v[6:7], s[24:25]
	s_delay_alu instid0(VALU_DEP_1)
	v_add_nc_u64_e32 v[6:7], s[18:19], v[6:7]
	global_load_i8 v19, v[2:3], off offset:256 th:TH_LOAD_NT
	global_load_i8 v20, v[6:7], off
	global_load_b64 v[8:9], v[4:5], off offset:2048 th:TH_LOAD_NT
	s_wait_loadcnt 0x2
	s_wait_xcnt 0x2
	v_cvt_f32_i32_e32 v2, v19
	s_wait_loadcnt 0x1
	v_cvt_f32_i32_e32 v3, v20
	s_wait_loadcnt 0x0
	s_wait_xcnt 0x1
	v_sub_nc_u64_e64 v[6:7], v[8:9], s[24:25]
	s_delay_alu instid0(VALU_DEP_2)
	v_mul_f32_e32 v8, v2, v3
.LBB59_42:
	s_wait_xcnt 0x0
	s_or_b32 exec_lo, exec_lo, s10
	s_and_saveexec_b32 s1, vcc_lo
	s_cbranch_execz .LBB59_51
; %bb.43:
	v_mov_b32_e32 v2, 0
	s_mov_b32 s10, exec_lo
	ds_load_b64 v[2:3], v2 offset:2040
	s_wait_dscnt 0x0
	v_cmpx_ne_u64_e64 v[6:7], v[2:3]
	s_xor_b32 s10, exec_lo, s10
	s_cbranch_execz .LBB59_48
; %bb.44:
	v_cmp_gt_i64_e32 vcc_lo, 0, v[2:3]
	s_cbranch_vccnz .LBB59_48
; %bb.45:
	s_mov_b32 s12, exec_lo
	s_mov_b32 s11, exec_lo
	v_mbcnt_lo_u32_b32 v4, s12, 0
	s_delay_alu instid0(VALU_DEP_1)
	v_cmpx_eq_u32_e32 0, v4
	s_cbranch_execz .LBB59_47
; %bb.46:
	v_mov_b32_e32 v4, 0
	v_lshlrev_b64_e32 v[2:3], 2, v[2:3]
	s_bcnt1_i32_b32 s12, s12
	s_delay_alu instid0(SALU_CYCLE_1)
	v_cvt_f32_ubyte0_e32 v5, s12
	ds_load_b32 v4, v4 offset:3068
	s_wait_kmcnt 0x0
	v_add_nc_u64_e32 v[2:3], s[16:17], v[2:3]
	s_wait_dscnt 0x0
	v_mul_f32_e32 v4, s22, v4
	s_delay_alu instid0(VALU_DEP_1)
	v_mul_f32_e32 v4, v4, v5
	global_atomic_add_f32 v[2:3], v4, off scope:SCOPE_DEV
.LBB59_47:
	s_wait_xcnt 0x0
	s_or_b32 exec_lo, exec_lo, s11
.LBB59_48:
	s_and_not1_saveexec_b32 s10, s10
	s_cbranch_execz .LBB59_50
; %bb.49:
	v_mov_b32_e32 v2, 0
	ds_load_b32 v2, v2 offset:3068
	s_wait_dscnt 0x0
	v_add_f32_e32 v8, v8, v2
.LBB59_50:
	s_or_b32 exec_lo, exec_lo, s10
.LBB59_51:
	s_delay_alu instid0(SALU_CYCLE_1)
	s_or_b32 exec_lo, exec_lo, s1
	s_wait_storecnt 0x0
	s_barrier_signal -1
	s_barrier_wait -1
	ds_store_b64 v1, v[6:7]
	ds_store_b32 v10, v8
	s_wait_dscnt 0x0
	s_barrier_signal -1
	s_barrier_wait -1
	s_and_saveexec_b32 s1, s2
	s_cbranch_execz .LBB59_55
; %bb.52:
	ds_load_b64 v[2:3], v11
	s_mov_b32 s2, exec_lo
	s_wait_dscnt 0x0
	v_cmpx_eq_u64_e64 v[6:7], v[2:3]
	s_cbranch_execz .LBB59_54
; %bb.53:
	v_add_nc_u32_e32 v2, -4, v10
	ds_load_b32 v2, v2
	s_wait_dscnt 0x0
	v_add_f32_e32 v8, v8, v2
.LBB59_54:
	s_or_b32 exec_lo, exec_lo, s2
.LBB59_55:
	s_delay_alu instid0(SALU_CYCLE_1)
	s_or_b32 exec_lo, exec_lo, s1
	s_barrier_signal -1
	s_barrier_wait -1
	ds_store_b32 v10, v8
	s_wait_dscnt 0x0
	s_barrier_signal -1
	s_barrier_wait -1
	s_and_saveexec_b32 s1, s3
	s_cbranch_execz .LBB59_59
; %bb.56:
	ds_load_b64 v[2:3], v12
	s_mov_b32 s2, exec_lo
	s_wait_dscnt 0x0
	v_cmpx_eq_u64_e64 v[6:7], v[2:3]
	s_cbranch_execz .LBB59_58
; %bb.57:
	v_add_nc_u32_e32 v2, -8, v10
	ds_load_b32 v2, v2
	s_wait_dscnt 0x0
	v_add_f32_e32 v8, v8, v2
.LBB59_58:
	s_or_b32 exec_lo, exec_lo, s2
.LBB59_59:
	s_delay_alu instid0(SALU_CYCLE_1)
	s_or_b32 exec_lo, exec_lo, s1
	s_barrier_signal -1
	s_barrier_wait -1
	;; [unrolled: 24-line block ×3, first 2 shown]
	ds_store_b32 v10, v8
	s_wait_dscnt 0x0
	s_barrier_signal -1
	s_barrier_wait -1
	s_and_saveexec_b32 s1, s5
	s_cbranch_execz .LBB59_67
; %bb.64:
	ds_load_b64 v[2:3], v14
	s_mov_b32 s2, exec_lo
	s_wait_dscnt 0x0
	v_cmpx_eq_u64_e64 v[6:7], v[2:3]
	s_cbranch_execz .LBB59_66
; %bb.65:
	v_subrev_nc_u32_e32 v2, 32, v10
	ds_load_b32 v2, v2
	s_wait_dscnt 0x0
	v_add_f32_e32 v8, v8, v2
.LBB59_66:
	s_or_b32 exec_lo, exec_lo, s2
.LBB59_67:
	s_delay_alu instid0(SALU_CYCLE_1)
	s_or_b32 exec_lo, exec_lo, s1
	s_barrier_signal -1
	s_barrier_wait -1
	ds_store_b32 v10, v8
	s_wait_dscnt 0x0
	s_barrier_signal -1
	s_barrier_wait -1
	s_and_saveexec_b32 s1, s6
	s_cbranch_execz .LBB59_71
; %bb.68:
	ds_load_b64 v[2:3], v15
	s_mov_b32 s2, exec_lo
	s_wait_dscnt 0x0
	v_cmpx_eq_u64_e64 v[6:7], v[2:3]
	s_cbranch_execz .LBB59_70
; %bb.69:
	v_subrev_nc_u32_e32 v2, 64, v10
	ds_load_b32 v2, v2
	s_wait_dscnt 0x0
	v_add_f32_e32 v8, v8, v2
.LBB59_70:
	s_or_b32 exec_lo, exec_lo, s2
.LBB59_71:
	s_delay_alu instid0(SALU_CYCLE_1)
	s_or_b32 exec_lo, exec_lo, s1
	s_barrier_signal -1
	s_barrier_wait -1
	ds_store_b32 v10, v8
	s_wait_dscnt 0x0
	s_barrier_signal -1
	s_barrier_wait -1
	s_and_saveexec_b32 s1, s7
	s_cbranch_execz .LBB59_75
; %bb.72:
	ds_load_b64 v[2:3], v16
	s_mov_b32 s2, exec_lo
	s_wait_dscnt 0x0
	v_cmpx_eq_u64_e64 v[6:7], v[2:3]
	s_cbranch_execz .LBB59_74
; %bb.73:
	v_add_nc_u32_e32 v2, 0xffffff80, v10
	ds_load_b32 v2, v2
	s_wait_dscnt 0x0
	v_add_f32_e32 v8, v8, v2
.LBB59_74:
	s_or_b32 exec_lo, exec_lo, s2
.LBB59_75:
	s_delay_alu instid0(SALU_CYCLE_1)
	s_or_b32 exec_lo, exec_lo, s1
	s_barrier_signal -1
	s_barrier_wait -1
	ds_store_b32 v10, v8
	s_wait_dscnt 0x0
	s_barrier_signal -1
	s_barrier_wait -1
	s_and_saveexec_b32 s1, s8
	s_cbranch_execz .LBB59_79
; %bb.76:
	ds_load_b64 v[2:3], v17
	s_mov_b32 s2, exec_lo
	s_wait_dscnt 0x0
	v_cmpx_eq_u64_e64 v[6:7], v[2:3]
	s_cbranch_execz .LBB59_78
; %bb.77:
	v_add_nc_u32_e32 v2, 0xffffff00, v10
	ds_load_b32 v2, v2
	s_wait_dscnt 0x0
	v_add_f32_e32 v8, v8, v2
.LBB59_78:
	s_or_b32 exec_lo, exec_lo, s2
.LBB59_79:
	;; [unrolled: 24-line block ×3, first 2 shown]
	s_delay_alu instid0(SALU_CYCLE_1)
	s_or_b32 exec_lo, exec_lo, s1
	s_barrier_signal -1
	s_barrier_wait -1
	ds_store_b32 v10, v8
	s_wait_dscnt 0x0
	s_barrier_signal -1
	s_barrier_wait -1
	s_and_saveexec_b32 s1, s0
	s_cbranch_execz .LBB59_86
; %bb.84:
	ds_load_b64 v[2:3], v1 offset:8
	v_cmp_lt_i64_e64 s0, -1, v[6:7]
	s_wait_dscnt 0x0
	v_cmp_ne_u64_e32 vcc_lo, v[6:7], v[2:3]
	s_and_b32 s0, s0, vcc_lo
	s_delay_alu instid0(SALU_CYCLE_1)
	s_and_b32 exec_lo, exec_lo, s0
	s_cbranch_execz .LBB59_86
; %bb.85:
	s_wait_kmcnt 0x0
	v_lshl_add_u64 v[2:3], v[6:7], 2, s[16:17]
	v_mul_f32_e32 v1, s22, v8
	global_atomic_add_f32 v[2:3], v1, off scope:SCOPE_DEV
.LBB59_86:
	s_wait_xcnt 0x0
	s_or_b32 exec_lo, exec_lo, s1
	v_cmp_lt_i64_e32 vcc_lo, -1, v[6:7]
	v_cmp_eq_u32_e64 s0, 0xff, v0
	s_and_b32 s0, s0, vcc_lo
	s_delay_alu instid0(SALU_CYCLE_1)
	s_and_saveexec_b32 s1, s0
	s_cbranch_execz .LBB59_88
; %bb.87:
	s_wait_kmcnt 0x0
	v_lshl_add_u64 v[0:1], v[6:7], 2, s[16:17]
	v_mul_f32_e32 v2, s22, v8
	global_atomic_add_f32 v[0:1], v2, off scope:SCOPE_DEV
.LBB59_88:
	s_endpgm
	.section	.rodata,"a",@progbits
	.p2align	6, 0x0
	.amdhsa_kernel _ZN9rocsparseL19coomvn_atomic_loopsILj256ELj2ElaaffEEvlNS_24const_host_device_scalarIT5_EEPKT1_S6_PKT2_PKT3_PT4_21rocsparse_index_base_b
		.amdhsa_group_segment_fixed_size 3072
		.amdhsa_private_segment_fixed_size 0
		.amdhsa_kernarg_size 64
		.amdhsa_user_sgpr_count 2
		.amdhsa_user_sgpr_dispatch_ptr 0
		.amdhsa_user_sgpr_queue_ptr 0
		.amdhsa_user_sgpr_kernarg_segment_ptr 1
		.amdhsa_user_sgpr_dispatch_id 0
		.amdhsa_user_sgpr_kernarg_preload_length 0
		.amdhsa_user_sgpr_kernarg_preload_offset 0
		.amdhsa_user_sgpr_private_segment_size 0
		.amdhsa_wavefront_size32 1
		.amdhsa_uses_dynamic_stack 0
		.amdhsa_enable_private_segment 0
		.amdhsa_system_sgpr_workgroup_id_x 1
		.amdhsa_system_sgpr_workgroup_id_y 0
		.amdhsa_system_sgpr_workgroup_id_z 0
		.amdhsa_system_sgpr_workgroup_info 0
		.amdhsa_system_vgpr_workitem_id 0
		.amdhsa_next_free_vgpr 22
		.amdhsa_next_free_sgpr 26
		.amdhsa_named_barrier_count 0
		.amdhsa_reserve_vcc 1
		.amdhsa_float_round_mode_32 0
		.amdhsa_float_round_mode_16_64 0
		.amdhsa_float_denorm_mode_32 3
		.amdhsa_float_denorm_mode_16_64 3
		.amdhsa_fp16_overflow 0
		.amdhsa_memory_ordered 1
		.amdhsa_forward_progress 1
		.amdhsa_inst_pref_size 21
		.amdhsa_round_robin_scheduling 0
		.amdhsa_exception_fp_ieee_invalid_op 0
		.amdhsa_exception_fp_denorm_src 0
		.amdhsa_exception_fp_ieee_div_zero 0
		.amdhsa_exception_fp_ieee_overflow 0
		.amdhsa_exception_fp_ieee_underflow 0
		.amdhsa_exception_fp_ieee_inexact 0
		.amdhsa_exception_int_div_zero 0
	.end_amdhsa_kernel
	.section	.text._ZN9rocsparseL19coomvn_atomic_loopsILj256ELj2ElaaffEEvlNS_24const_host_device_scalarIT5_EEPKT1_S6_PKT2_PKT3_PT4_21rocsparse_index_base_b,"axG",@progbits,_ZN9rocsparseL19coomvn_atomic_loopsILj256ELj2ElaaffEEvlNS_24const_host_device_scalarIT5_EEPKT1_S6_PKT2_PKT3_PT4_21rocsparse_index_base_b,comdat
.Lfunc_end59:
	.size	_ZN9rocsparseL19coomvn_atomic_loopsILj256ELj2ElaaffEEvlNS_24const_host_device_scalarIT5_EEPKT1_S6_PKT2_PKT3_PT4_21rocsparse_index_base_b, .Lfunc_end59-_ZN9rocsparseL19coomvn_atomic_loopsILj256ELj2ElaaffEEvlNS_24const_host_device_scalarIT5_EEPKT1_S6_PKT2_PKT3_PT4_21rocsparse_index_base_b
                                        ; -- End function
	.set _ZN9rocsparseL19coomvn_atomic_loopsILj256ELj2ElaaffEEvlNS_24const_host_device_scalarIT5_EEPKT1_S6_PKT2_PKT3_PT4_21rocsparse_index_base_b.num_vgpr, 22
	.set _ZN9rocsparseL19coomvn_atomic_loopsILj256ELj2ElaaffEEvlNS_24const_host_device_scalarIT5_EEPKT1_S6_PKT2_PKT3_PT4_21rocsparse_index_base_b.num_agpr, 0
	.set _ZN9rocsparseL19coomvn_atomic_loopsILj256ELj2ElaaffEEvlNS_24const_host_device_scalarIT5_EEPKT1_S6_PKT2_PKT3_PT4_21rocsparse_index_base_b.numbered_sgpr, 26
	.set _ZN9rocsparseL19coomvn_atomic_loopsILj256ELj2ElaaffEEvlNS_24const_host_device_scalarIT5_EEPKT1_S6_PKT2_PKT3_PT4_21rocsparse_index_base_b.num_named_barrier, 0
	.set _ZN9rocsparseL19coomvn_atomic_loopsILj256ELj2ElaaffEEvlNS_24const_host_device_scalarIT5_EEPKT1_S6_PKT2_PKT3_PT4_21rocsparse_index_base_b.private_seg_size, 0
	.set _ZN9rocsparseL19coomvn_atomic_loopsILj256ELj2ElaaffEEvlNS_24const_host_device_scalarIT5_EEPKT1_S6_PKT2_PKT3_PT4_21rocsparse_index_base_b.uses_vcc, 1
	.set _ZN9rocsparseL19coomvn_atomic_loopsILj256ELj2ElaaffEEvlNS_24const_host_device_scalarIT5_EEPKT1_S6_PKT2_PKT3_PT4_21rocsparse_index_base_b.uses_flat_scratch, 0
	.set _ZN9rocsparseL19coomvn_atomic_loopsILj256ELj2ElaaffEEvlNS_24const_host_device_scalarIT5_EEPKT1_S6_PKT2_PKT3_PT4_21rocsparse_index_base_b.has_dyn_sized_stack, 0
	.set _ZN9rocsparseL19coomvn_atomic_loopsILj256ELj2ElaaffEEvlNS_24const_host_device_scalarIT5_EEPKT1_S6_PKT2_PKT3_PT4_21rocsparse_index_base_b.has_recursion, 0
	.set _ZN9rocsparseL19coomvn_atomic_loopsILj256ELj2ElaaffEEvlNS_24const_host_device_scalarIT5_EEPKT1_S6_PKT2_PKT3_PT4_21rocsparse_index_base_b.has_indirect_call, 0
	.section	.AMDGPU.csdata,"",@progbits
; Kernel info:
; codeLenInByte = 2676
; TotalNumSgprs: 28
; NumVgprs: 22
; ScratchSize: 0
; MemoryBound: 0
; FloatMode: 240
; IeeeMode: 1
; LDSByteSize: 3072 bytes/workgroup (compile time only)
; SGPRBlocks: 0
; VGPRBlocks: 1
; NumSGPRsForWavesPerEU: 28
; NumVGPRsForWavesPerEU: 22
; NamedBarCnt: 0
; Occupancy: 16
; WaveLimiterHint : 1
; COMPUTE_PGM_RSRC2:SCRATCH_EN: 0
; COMPUTE_PGM_RSRC2:USER_SGPR: 2
; COMPUTE_PGM_RSRC2:TRAP_HANDLER: 0
; COMPUTE_PGM_RSRC2:TGID_X_EN: 1
; COMPUTE_PGM_RSRC2:TGID_Y_EN: 0
; COMPUTE_PGM_RSRC2:TGID_Z_EN: 0
; COMPUTE_PGM_RSRC2:TIDIG_COMP_CNT: 0
	.section	.text._ZN9rocsparseL22coomvn_segmented_loopsILj256EiDF16_DF16_ffEEvlT0_NS_24const_host_device_scalarIT4_EEPKS1_S6_PKT1_PKT2_PT3_PS1_PS3_21rocsparse_index_base_b,"axG",@progbits,_ZN9rocsparseL22coomvn_segmented_loopsILj256EiDF16_DF16_ffEEvlT0_NS_24const_host_device_scalarIT4_EEPKS1_S6_PKT1_PKT2_PT3_PS1_PS3_21rocsparse_index_base_b,comdat
	.globl	_ZN9rocsparseL22coomvn_segmented_loopsILj256EiDF16_DF16_ffEEvlT0_NS_24const_host_device_scalarIT4_EEPKS1_S6_PKT1_PKT2_PT3_PS1_PS3_21rocsparse_index_base_b ; -- Begin function _ZN9rocsparseL22coomvn_segmented_loopsILj256EiDF16_DF16_ffEEvlT0_NS_24const_host_device_scalarIT4_EEPKS1_S6_PKT1_PKT2_PT3_PS1_PS3_21rocsparse_index_base_b
	.p2align	8
	.type	_ZN9rocsparseL22coomvn_segmented_loopsILj256EiDF16_DF16_ffEEvlT0_NS_24const_host_device_scalarIT4_EEPKS1_S6_PKT1_PKT2_PT3_PS1_PS3_21rocsparse_index_base_b,@function
_ZN9rocsparseL22coomvn_segmented_loopsILj256EiDF16_DF16_ffEEvlT0_NS_24const_host_device_scalarIT4_EEPKS1_S6_PKT1_PKT2_PT3_PS1_PS3_21rocsparse_index_base_b: ; @_ZN9rocsparseL22coomvn_segmented_loopsILj256EiDF16_DF16_ffEEvlT0_NS_24const_host_device_scalarIT4_EEPKS1_S6_PKT1_PKT2_PT3_PS1_PS3_21rocsparse_index_base_b
; %bb.0:
	s_clause 0x1
	s_load_b64 s[30:31], s[0:1], 0x50
	s_load_b64 s[28:29], s[0:1], 0x10
	s_wait_kmcnt 0x0
	s_bitcmp1_b32 s31, 0
	s_cselect_b32 s2, -1, 0
	s_delay_alu instid0(SALU_CYCLE_1)
	s_and_b32 vcc_lo, exec_lo, s2
	s_cbranch_vccnz .LBB60_2
; %bb.1:
	s_load_b32 s28, s[28:29], 0x0
.LBB60_2:
	s_wait_kmcnt 0x0
	s_cmp_eq_f32 s28, 0
	s_cbranch_scc1 .LBB60_89
; %bb.3:
	s_clause 0x1
	s_load_b96 s[24:26], s[0:1], 0x0
	s_load_b256 s[16:23], s[0:1], 0x18
	s_bfe_u32 s2, ttmp6, 0x4000c
	s_and_b32 s3, ttmp6, 15
	s_add_co_i32 s2, s2, 1
	s_getreg_b32 s4, hwreg(HW_REG_IB_STS2, 6, 4)
	s_mul_i32 s2, ttmp9, s2
	v_dual_mov_b32 v3, 0 :: v_dual_mov_b32 v12, -1
	s_add_co_i32 s3, s3, s2
	s_cmp_eq_u32 s4, 0
	s_cselect_b32 s27, ttmp9, s3
	s_delay_alu instid0(VALU_DEP_1) | instskip(SKIP_2) | instid1(SALU_CYCLE_1)
	v_mov_b32_e32 v13, v3
	s_wait_kmcnt 0x0
	s_mul_i32 s2, s27, s26
	v_lshl_or_b32 v2, s2, 8, v0
	s_mov_b32 s2, exec_lo
	s_delay_alu instid0(VALU_DEP_1)
	v_lshl_add_u64 v[4:5], v[2:3], 1, s[20:21]
	v_cmpx_gt_i64_e64 s[24:25], v[2:3]
	s_cbranch_execz .LBB60_5
; %bb.4:
	v_lshlrev_b64_e32 v[6:7], 2, v[2:3]
	s_ashr_i32 s31, s30, 31
	s_delay_alu instid0(SALU_CYCLE_1) | instskip(NEXT) | instid1(VALU_DEP_1)
	s_lshl_b64 s[4:5], s[30:31], 1
	v_add_nc_u64_e32 v[8:9], s[18:19], v[6:7]
	v_add_nc_u64_e32 v[6:7], s[16:17], v[6:7]
	global_load_b32 v8, v[8:9], off th:TH_LOAD_NT
	s_wait_loadcnt 0x0
	v_ashrrev_i32_e32 v9, 31, v8
	s_delay_alu instid0(VALU_DEP_1) | instskip(NEXT) | instid1(VALU_DEP_1)
	v_lshl_add_u64 v[8:9], v[8:9], 1, s[22:23]
	v_sub_nc_u64_e64 v[8:9], v[8:9], s[4:5]
	global_load_u16 v1, v[4:5], off
	global_load_u16 v10, v[8:9], off
	global_load_b32 v11, v[6:7], off th:TH_LOAD_NT
	s_wait_loadcnt 0x2
	v_cvt_f32_f16_e32 v1, v1
	s_wait_loadcnt 0x1
	s_wait_xcnt 0x0
	v_cvt_f32_f16_e32 v6, v10
	s_wait_loadcnt 0x0
	v_subrev_nc_u32_e32 v12, s30, v11
	s_delay_alu instid0(VALU_DEP_2)
	v_mul_f32_e32 v13, v1, v6
.LBB60_5:
	s_or_b32 exec_lo, exec_lo, s2
	v_lshlrev_b32_e32 v1, 2, v0
	v_cmp_eq_u32_e64 s2, 0, v0
	v_cmp_ne_u32_e64 s3, 0, v0
	s_delay_alu instid0(VALU_DEP_3)
	v_or_b32_e32 v10, 0x400, v1
	v_add_nc_u32_e32 v11, -4, v1
	ds_store_2addr_stride64_b32 v1, v12, v13 offset1:4
	s_wait_dscnt 0x0
	s_barrier_signal -1
	s_barrier_wait -1
	s_and_saveexec_b32 s4, s3
	s_cbranch_execz .LBB60_9
; %bb.6:
	ds_load_b32 v6, v11
	s_mov_b32 s5, exec_lo
	s_wait_dscnt 0x0
	v_cmpx_eq_u32_e64 v12, v6
	s_cbranch_execz .LBB60_8
; %bb.7:
	v_add_nc_u32_e32 v6, -4, v10
	ds_load_b32 v6, v6
	s_wait_dscnt 0x0
	v_add_f32_e32 v13, v13, v6
.LBB60_8:
	s_or_b32 exec_lo, exec_lo, s5
.LBB60_9:
	s_delay_alu instid0(SALU_CYCLE_1)
	s_or_b32 exec_lo, exec_lo, s4
	v_cmp_lt_u32_e64 s4, 1, v0
	v_add_nc_u32_e32 v14, -8, v1
	s_barrier_signal -1
	s_barrier_wait -1
	ds_store_b32 v10, v13
	s_wait_dscnt 0x0
	s_barrier_signal -1
	s_barrier_wait -1
	s_and_saveexec_b32 s5, s4
	s_cbranch_execz .LBB60_13
; %bb.10:
	ds_load_b32 v6, v14
	s_mov_b32 s6, exec_lo
	s_wait_dscnt 0x0
	v_cmpx_eq_u32_e64 v12, v6
	s_cbranch_execz .LBB60_12
; %bb.11:
	v_add_nc_u32_e32 v6, -8, v10
	ds_load_b32 v6, v6
	s_wait_dscnt 0x0
	v_add_f32_e32 v13, v13, v6
.LBB60_12:
	s_or_b32 exec_lo, exec_lo, s6
.LBB60_13:
	s_delay_alu instid0(SALU_CYCLE_1)
	s_or_b32 exec_lo, exec_lo, s5
	v_cmp_lt_u32_e64 s5, 3, v0
	v_add_nc_u32_e32 v15, -16, v1
	s_barrier_signal -1
	s_barrier_wait -1
	ds_store_b32 v10, v13
	s_wait_dscnt 0x0
	s_barrier_signal -1
	s_barrier_wait -1
	s_and_saveexec_b32 s6, s5
	s_cbranch_execz .LBB60_17
; %bb.14:
	ds_load_b32 v6, v15
	s_mov_b32 s7, exec_lo
	s_wait_dscnt 0x0
	v_cmpx_eq_u32_e64 v12, v6
	s_cbranch_execz .LBB60_16
; %bb.15:
	v_add_nc_u32_e32 v6, -16, v10
	ds_load_b32 v6, v6
	s_wait_dscnt 0x0
	v_add_f32_e32 v13, v13, v6
.LBB60_16:
	s_or_b32 exec_lo, exec_lo, s7
.LBB60_17:
	s_delay_alu instid0(SALU_CYCLE_1)
	s_or_b32 exec_lo, exec_lo, s6
	v_cmp_lt_u32_e64 s6, 7, v0
	v_subrev_nc_u32_e32 v16, 32, v1
	s_barrier_signal -1
	s_barrier_wait -1
	ds_store_b32 v10, v13
	s_wait_dscnt 0x0
	s_barrier_signal -1
	s_barrier_wait -1
	s_and_saveexec_b32 s7, s6
	s_cbranch_execz .LBB60_21
; %bb.18:
	ds_load_b32 v6, v16
	s_mov_b32 s8, exec_lo
	s_wait_dscnt 0x0
	v_cmpx_eq_u32_e64 v12, v6
	s_cbranch_execz .LBB60_20
; %bb.19:
	v_subrev_nc_u32_e32 v6, 32, v10
	ds_load_b32 v6, v6
	s_wait_dscnt 0x0
	v_add_f32_e32 v13, v13, v6
.LBB60_20:
	s_or_b32 exec_lo, exec_lo, s8
.LBB60_21:
	s_delay_alu instid0(SALU_CYCLE_1)
	s_or_b32 exec_lo, exec_lo, s7
	v_cmp_lt_u32_e64 s7, 15, v0
	v_subrev_nc_u32_e32 v17, 64, v1
	s_barrier_signal -1
	s_barrier_wait -1
	ds_store_b32 v10, v13
	s_wait_dscnt 0x0
	s_barrier_signal -1
	s_barrier_wait -1
	s_and_saveexec_b32 s8, s7
	s_cbranch_execz .LBB60_25
; %bb.22:
	ds_load_b32 v6, v17
	s_mov_b32 s9, exec_lo
	s_wait_dscnt 0x0
	v_cmpx_eq_u32_e64 v12, v6
	s_cbranch_execz .LBB60_24
; %bb.23:
	v_subrev_nc_u32_e32 v6, 64, v10
	ds_load_b32 v6, v6
	s_wait_dscnt 0x0
	v_add_f32_e32 v13, v13, v6
.LBB60_24:
	s_or_b32 exec_lo, exec_lo, s9
.LBB60_25:
	s_delay_alu instid0(SALU_CYCLE_1)
	s_or_b32 exec_lo, exec_lo, s8
	v_cmp_lt_u32_e64 s8, 31, v0
	v_add_nc_u32_e32 v18, 0xffffff80, v1
	s_barrier_signal -1
	s_barrier_wait -1
	ds_store_b32 v10, v13
	s_wait_dscnt 0x0
	s_barrier_signal -1
	s_barrier_wait -1
	s_and_saveexec_b32 s9, s8
	s_cbranch_execz .LBB60_29
; %bb.26:
	ds_load_b32 v6, v18
	s_mov_b32 s10, exec_lo
	s_wait_dscnt 0x0
	v_cmpx_eq_u32_e64 v12, v6
	s_cbranch_execz .LBB60_28
; %bb.27:
	v_add_nc_u32_e32 v6, 0xffffff80, v10
	ds_load_b32 v6, v6
	s_wait_dscnt 0x0
	v_add_f32_e32 v13, v13, v6
.LBB60_28:
	s_or_b32 exec_lo, exec_lo, s10
.LBB60_29:
	s_delay_alu instid0(SALU_CYCLE_1)
	s_or_b32 exec_lo, exec_lo, s9
	v_cmp_lt_u32_e64 s9, 63, v0
	v_add_nc_u32_e32 v19, 0xffffff00, v1
	s_barrier_signal -1
	s_barrier_wait -1
	ds_store_b32 v10, v13
	s_wait_dscnt 0x0
	s_barrier_signal -1
	s_barrier_wait -1
	s_and_saveexec_b32 s10, s9
	s_cbranch_execz .LBB60_33
; %bb.30:
	ds_load_b32 v6, v19
	s_mov_b32 s11, exec_lo
	s_wait_dscnt 0x0
	v_cmpx_eq_u32_e64 v12, v6
	s_cbranch_execz .LBB60_32
; %bb.31:
	v_add_nc_u32_e32 v6, 0xffffff00, v10
	ds_load_b32 v6, v6
	s_wait_dscnt 0x0
	v_add_f32_e32 v13, v13, v6
.LBB60_32:
	s_or_b32 exec_lo, exec_lo, s11
.LBB60_33:
	s_delay_alu instid0(SALU_CYCLE_1)
	s_or_b32 exec_lo, exec_lo, s10
	s_load_b64 s[20:21], s[0:1], 0x38
	v_cmp_lt_u32_e64 s10, 0x7f, v0
	v_add_nc_u32_e32 v20, 0xfffffe00, v1
	s_barrier_signal -1
	s_barrier_wait -1
	ds_store_b32 v10, v13
	s_wait_dscnt 0x0
	s_barrier_signal -1
	s_barrier_wait -1
	s_and_saveexec_b32 s11, s10
	s_cbranch_execz .LBB60_37
; %bb.34:
	ds_load_b32 v6, v20
	s_mov_b32 s12, exec_lo
	s_wait_dscnt 0x0
	v_cmpx_eq_u32_e64 v12, v6
	s_cbranch_execz .LBB60_36
; %bb.35:
	v_add_nc_u32_e32 v6, 0xfffffe00, v10
	ds_load_b32 v6, v6
	s_wait_dscnt 0x0
	v_add_f32_e32 v13, v13, v6
.LBB60_36:
	s_or_b32 exec_lo, exec_lo, s12
.LBB60_37:
	s_delay_alu instid0(SALU_CYCLE_1)
	s_or_b32 exec_lo, exec_lo, s11
	v_cmp_gt_u32_e64 s11, 0xff, v0
	s_barrier_signal -1
	s_barrier_wait -1
	ds_store_b32 v10, v13
	s_wait_dscnt 0x0
	s_barrier_signal -1
	s_barrier_wait -1
	s_and_saveexec_b32 s13, s11
	s_cbranch_execz .LBB60_40
; %bb.38:
	ds_load_b32 v6, v1 offset:4
	v_cmp_lt_i32_e64 s12, -1, v12
	s_wait_dscnt 0x0
	v_cmp_ne_u32_e32 vcc_lo, v12, v6
	s_and_b32 s12, s12, vcc_lo
	s_delay_alu instid0(SALU_CYCLE_1)
	s_and_b32 exec_lo, exec_lo, s12
	s_cbranch_execz .LBB60_40
; %bb.39:
	s_wait_kmcnt 0x0
	global_load_b32 v6, v12, s[20:21] scale_offset
	s_wait_loadcnt 0x0
	v_fmac_f32_e32 v6, s28, v13
	global_store_b32 v12, v6, s[20:21] scale_offset
.LBB60_40:
	s_wait_xcnt 0x0
	s_or_b32 exec_lo, exec_lo, s13
	s_load_b128 s[12:15], s[0:1], 0x40
	s_cmp_lt_i32 s26, 2
	s_cbranch_scc1 .LBB60_87
; %bb.41:
	v_lshl_add_u64 v[8:9], v[2:3], 2, 0x400
	v_add_nc_u64_e32 v[4:5], 0x200, v[4:5]
	v_add_nc_u64_e32 v[2:3], 0x100, v[2:3]
	s_ashr_i32 s31, s30, 31
	v_dual_add_nc_u32 v21, -4, v10 :: v_dual_add_nc_u32 v22, -8, v10
	v_add_nc_u64_e32 v[6:7], s[18:19], v[8:9]
	v_add_nc_u64_e32 v[8:9], s[16:17], v[8:9]
	v_dual_add_nc_u32 v23, -16, v10 :: v_dual_mov_b32 v29, 0
	v_subrev_nc_u32_e32 v24, 32, v10
	v_subrev_nc_u32_e32 v25, 64, v10
	v_add_nc_u32_e32 v26, 0xffffff80, v10
	v_add_nc_u32_e32 v27, 0xffffff00, v10
	;; [unrolled: 1-line block ×3, first 2 shown]
	s_wait_xcnt 0x0
	s_lshl_b64 s[0:1], s[30:31], 1
	s_delay_alu instid0(SALU_CYCLE_1)
	s_sub_nc_u64 s[16:17], s[22:23], s[0:1]
	s_add_co_i32 s1, s26, -1
	s_branch .LBB60_43
.LBB60_42:                              ;   in Loop: Header=BB60_43 Depth=1
	s_wait_xcnt 0x0
	s_or_b32 exec_lo, exec_lo, s18
	v_add_nc_u64_e32 v[6:7], 0x400, v[6:7]
	v_add_nc_u64_e32 v[4:5], 0x200, v[4:5]
	;; [unrolled: 1-line block ×4, first 2 shown]
	s_add_co_i32 s1, s1, -1
	s_delay_alu instid0(SALU_CYCLE_1)
	s_cmp_eq_u32 s1, 0
	s_cbranch_scc1 .LBB60_87
.LBB60_43:                              ; =>This Inner Loop Header: Depth=1
	v_dual_mov_b32 v12, -1 :: v_dual_mov_b32 v13, 0
	s_mov_b32 s0, exec_lo
	s_delay_alu instid0(VALU_DEP_2)
	v_cmpx_gt_i64_e64 s[24:25], v[2:3]
	s_cbranch_execz .LBB60_45
; %bb.44:                               ;   in Loop: Header=BB60_43 Depth=1
	global_load_b32 v12, v[6:7], off th:TH_LOAD_NT
	global_load_u16 v13, v[4:5], off
	s_wait_loadcnt 0x1
	global_load_u16 v30, v12, s[16:17] scale_offset
	global_load_b32 v31, v[8:9], off th:TH_LOAD_NT
	s_wait_loadcnt 0x2
	v_cvt_f32_f16_e32 v13, v13
	s_wait_loadcnt 0x1
	v_cvt_f32_f16_e32 v30, v30
	s_wait_loadcnt 0x0
	s_wait_xcnt 0x1
	v_subrev_nc_u32_e32 v12, s30, v31
	s_delay_alu instid0(VALU_DEP_2)
	v_mul_f32_e32 v13, v13, v30
.LBB60_45:                              ;   in Loop: Header=BB60_43 Depth=1
	s_wait_xcnt 0x0
	s_or_b32 exec_lo, exec_lo, s0
	s_and_saveexec_b32 s0, s2
	s_cbranch_execz .LBB60_52
; %bb.46:                               ;   in Loop: Header=BB60_43 Depth=1
	ds_load_b32 v30, v29 offset:1020
	s_mov_b32 s18, exec_lo
	s_wait_dscnt 0x0
	v_cmpx_ne_u32_e64 v12, v30
	s_xor_b32 s18, exec_lo, s18
	s_cbranch_execz .LBB60_49
; %bb.47:                               ;   in Loop: Header=BB60_43 Depth=1
	v_cmp_gt_i32_e32 vcc_lo, 0, v30
	s_cbranch_vccnz .LBB60_49
; %bb.48:                               ;   in Loop: Header=BB60_43 Depth=1
	s_wait_kmcnt 0x0
	global_load_b32 v31, v30, s[20:21] scale_offset
	ds_load_b32 v32, v29 offset:2044
	s_wait_loadcnt_dscnt 0x0
	v_fmac_f32_e32 v31, s28, v32
	global_store_b32 v30, v31, s[20:21] scale_offset
.LBB60_49:                              ;   in Loop: Header=BB60_43 Depth=1
	s_wait_xcnt 0x0
	s_and_not1_saveexec_b32 s18, s18
	s_cbranch_execz .LBB60_51
; %bb.50:                               ;   in Loop: Header=BB60_43 Depth=1
	ds_load_b32 v30, v29 offset:2044
	s_wait_dscnt 0x0
	v_add_f32_e32 v13, v13, v30
.LBB60_51:                              ;   in Loop: Header=BB60_43 Depth=1
	s_or_b32 exec_lo, exec_lo, s18
.LBB60_52:                              ;   in Loop: Header=BB60_43 Depth=1
	s_delay_alu instid0(SALU_CYCLE_1)
	s_or_b32 exec_lo, exec_lo, s0
	s_wait_storecnt 0x0
	s_barrier_signal -1
	s_barrier_wait -1
	ds_store_b32 v1, v12
	ds_store_b32 v10, v13
	s_wait_dscnt 0x0
	s_barrier_signal -1
	s_barrier_wait -1
	s_and_saveexec_b32 s0, s3
	s_cbranch_execz .LBB60_56
; %bb.53:                               ;   in Loop: Header=BB60_43 Depth=1
	ds_load_b32 v30, v11
	s_mov_b32 s18, exec_lo
	s_wait_dscnt 0x0
	v_cmpx_eq_u32_e64 v12, v30
	s_cbranch_execz .LBB60_55
; %bb.54:                               ;   in Loop: Header=BB60_43 Depth=1
	ds_load_b32 v30, v21
	s_wait_dscnt 0x0
	v_add_f32_e32 v13, v13, v30
.LBB60_55:                              ;   in Loop: Header=BB60_43 Depth=1
	s_or_b32 exec_lo, exec_lo, s18
.LBB60_56:                              ;   in Loop: Header=BB60_43 Depth=1
	s_delay_alu instid0(SALU_CYCLE_1)
	s_or_b32 exec_lo, exec_lo, s0
	s_barrier_signal -1
	s_barrier_wait -1
	ds_store_b32 v10, v13
	s_wait_dscnt 0x0
	s_barrier_signal -1
	s_barrier_wait -1
	s_and_saveexec_b32 s0, s4
	s_cbranch_execz .LBB60_60
; %bb.57:                               ;   in Loop: Header=BB60_43 Depth=1
	ds_load_b32 v30, v14
	s_mov_b32 s18, exec_lo
	s_wait_dscnt 0x0
	v_cmpx_eq_u32_e64 v12, v30
	s_cbranch_execz .LBB60_59
; %bb.58:                               ;   in Loop: Header=BB60_43 Depth=1
	ds_load_b32 v30, v22
	s_wait_dscnt 0x0
	v_add_f32_e32 v13, v13, v30
.LBB60_59:                              ;   in Loop: Header=BB60_43 Depth=1
	s_or_b32 exec_lo, exec_lo, s18
.LBB60_60:                              ;   in Loop: Header=BB60_43 Depth=1
	s_delay_alu instid0(SALU_CYCLE_1)
	s_or_b32 exec_lo, exec_lo, s0
	s_barrier_signal -1
	s_barrier_wait -1
	;; [unrolled: 23-line block ×8, first 2 shown]
	ds_store_b32 v10, v13
	s_wait_dscnt 0x0
	s_barrier_signal -1
	s_barrier_wait -1
	s_and_saveexec_b32 s18, s11
	s_cbranch_execz .LBB60_42
; %bb.85:                               ;   in Loop: Header=BB60_43 Depth=1
	ds_load_b32 v30, v1 offset:4
	v_cmp_lt_i32_e64 s0, -1, v12
	s_wait_dscnt 0x0
	v_cmp_ne_u32_e32 vcc_lo, v12, v30
	s_and_b32 s0, s0, vcc_lo
	s_delay_alu instid0(SALU_CYCLE_1)
	s_and_b32 exec_lo, exec_lo, s0
	s_cbranch_execz .LBB60_42
; %bb.86:                               ;   in Loop: Header=BB60_43 Depth=1
	s_wait_kmcnt 0x0
	global_load_b32 v30, v12, s[20:21] scale_offset
	s_wait_loadcnt 0x0
	v_fmac_f32_e32 v30, s28, v13
	global_store_b32 v12, v30, s[20:21] scale_offset
	s_branch .LBB60_42
.LBB60_87:
	s_wait_xcnt 0x0
	s_mov_b32 s0, exec_lo
	v_cmpx_eq_u32_e32 0xff, v0
	s_cbranch_execz .LBB60_89
; %bb.88:
	v_dual_mov_b32 v0, s27 :: v_dual_mul_f32 v1, s28, v13
	s_wait_kmcnt 0x0
	s_clause 0x1
	global_store_b32 v0, v12, s[12:13] scale_offset th:TH_STORE_NT
	global_store_b32 v0, v1, s[14:15] scale_offset th:TH_STORE_NT
.LBB60_89:
	s_endpgm
	.section	.rodata,"a",@progbits
	.p2align	6, 0x0
	.amdhsa_kernel _ZN9rocsparseL22coomvn_segmented_loopsILj256EiDF16_DF16_ffEEvlT0_NS_24const_host_device_scalarIT4_EEPKS1_S6_PKT1_PKT2_PT3_PS1_PS3_21rocsparse_index_base_b
		.amdhsa_group_segment_fixed_size 2048
		.amdhsa_private_segment_fixed_size 0
		.amdhsa_kernarg_size 88
		.amdhsa_user_sgpr_count 2
		.amdhsa_user_sgpr_dispatch_ptr 0
		.amdhsa_user_sgpr_queue_ptr 0
		.amdhsa_user_sgpr_kernarg_segment_ptr 1
		.amdhsa_user_sgpr_dispatch_id 0
		.amdhsa_user_sgpr_kernarg_preload_length 0
		.amdhsa_user_sgpr_kernarg_preload_offset 0
		.amdhsa_user_sgpr_private_segment_size 0
		.amdhsa_wavefront_size32 1
		.amdhsa_uses_dynamic_stack 0
		.amdhsa_enable_private_segment 0
		.amdhsa_system_sgpr_workgroup_id_x 1
		.amdhsa_system_sgpr_workgroup_id_y 0
		.amdhsa_system_sgpr_workgroup_id_z 0
		.amdhsa_system_sgpr_workgroup_info 0
		.amdhsa_system_vgpr_workitem_id 0
		.amdhsa_next_free_vgpr 33
		.amdhsa_next_free_sgpr 32
		.amdhsa_named_barrier_count 0
		.amdhsa_reserve_vcc 1
		.amdhsa_float_round_mode_32 0
		.amdhsa_float_round_mode_16_64 0
		.amdhsa_float_denorm_mode_32 3
		.amdhsa_float_denorm_mode_16_64 3
		.amdhsa_fp16_overflow 0
		.amdhsa_memory_ordered 1
		.amdhsa_forward_progress 1
		.amdhsa_inst_pref_size 22
		.amdhsa_round_robin_scheduling 0
		.amdhsa_exception_fp_ieee_invalid_op 0
		.amdhsa_exception_fp_denorm_src 0
		.amdhsa_exception_fp_ieee_div_zero 0
		.amdhsa_exception_fp_ieee_overflow 0
		.amdhsa_exception_fp_ieee_underflow 0
		.amdhsa_exception_fp_ieee_inexact 0
		.amdhsa_exception_int_div_zero 0
	.end_amdhsa_kernel
	.section	.text._ZN9rocsparseL22coomvn_segmented_loopsILj256EiDF16_DF16_ffEEvlT0_NS_24const_host_device_scalarIT4_EEPKS1_S6_PKT1_PKT2_PT3_PS1_PS3_21rocsparse_index_base_b,"axG",@progbits,_ZN9rocsparseL22coomvn_segmented_loopsILj256EiDF16_DF16_ffEEvlT0_NS_24const_host_device_scalarIT4_EEPKS1_S6_PKT1_PKT2_PT3_PS1_PS3_21rocsparse_index_base_b,comdat
.Lfunc_end60:
	.size	_ZN9rocsparseL22coomvn_segmented_loopsILj256EiDF16_DF16_ffEEvlT0_NS_24const_host_device_scalarIT4_EEPKS1_S6_PKT1_PKT2_PT3_PS1_PS3_21rocsparse_index_base_b, .Lfunc_end60-_ZN9rocsparseL22coomvn_segmented_loopsILj256EiDF16_DF16_ffEEvlT0_NS_24const_host_device_scalarIT4_EEPKS1_S6_PKT1_PKT2_PT3_PS1_PS3_21rocsparse_index_base_b
                                        ; -- End function
	.set _ZN9rocsparseL22coomvn_segmented_loopsILj256EiDF16_DF16_ffEEvlT0_NS_24const_host_device_scalarIT4_EEPKS1_S6_PKT1_PKT2_PT3_PS1_PS3_21rocsparse_index_base_b.num_vgpr, 33
	.set _ZN9rocsparseL22coomvn_segmented_loopsILj256EiDF16_DF16_ffEEvlT0_NS_24const_host_device_scalarIT4_EEPKS1_S6_PKT1_PKT2_PT3_PS1_PS3_21rocsparse_index_base_b.num_agpr, 0
	.set _ZN9rocsparseL22coomvn_segmented_loopsILj256EiDF16_DF16_ffEEvlT0_NS_24const_host_device_scalarIT4_EEPKS1_S6_PKT1_PKT2_PT3_PS1_PS3_21rocsparse_index_base_b.numbered_sgpr, 32
	.set _ZN9rocsparseL22coomvn_segmented_loopsILj256EiDF16_DF16_ffEEvlT0_NS_24const_host_device_scalarIT4_EEPKS1_S6_PKT1_PKT2_PT3_PS1_PS3_21rocsparse_index_base_b.num_named_barrier, 0
	.set _ZN9rocsparseL22coomvn_segmented_loopsILj256EiDF16_DF16_ffEEvlT0_NS_24const_host_device_scalarIT4_EEPKS1_S6_PKT1_PKT2_PT3_PS1_PS3_21rocsparse_index_base_b.private_seg_size, 0
	.set _ZN9rocsparseL22coomvn_segmented_loopsILj256EiDF16_DF16_ffEEvlT0_NS_24const_host_device_scalarIT4_EEPKS1_S6_PKT1_PKT2_PT3_PS1_PS3_21rocsparse_index_base_b.uses_vcc, 1
	.set _ZN9rocsparseL22coomvn_segmented_loopsILj256EiDF16_DF16_ffEEvlT0_NS_24const_host_device_scalarIT4_EEPKS1_S6_PKT1_PKT2_PT3_PS1_PS3_21rocsparse_index_base_b.uses_flat_scratch, 0
	.set _ZN9rocsparseL22coomvn_segmented_loopsILj256EiDF16_DF16_ffEEvlT0_NS_24const_host_device_scalarIT4_EEPKS1_S6_PKT1_PKT2_PT3_PS1_PS3_21rocsparse_index_base_b.has_dyn_sized_stack, 0
	.set _ZN9rocsparseL22coomvn_segmented_loopsILj256EiDF16_DF16_ffEEvlT0_NS_24const_host_device_scalarIT4_EEPKS1_S6_PKT1_PKT2_PT3_PS1_PS3_21rocsparse_index_base_b.has_recursion, 0
	.set _ZN9rocsparseL22coomvn_segmented_loopsILj256EiDF16_DF16_ffEEvlT0_NS_24const_host_device_scalarIT4_EEPKS1_S6_PKT1_PKT2_PT3_PS1_PS3_21rocsparse_index_base_b.has_indirect_call, 0
	.section	.AMDGPU.csdata,"",@progbits
; Kernel info:
; codeLenInByte = 2744
; TotalNumSgprs: 34
; NumVgprs: 33
; ScratchSize: 0
; MemoryBound: 0
; FloatMode: 240
; IeeeMode: 1
; LDSByteSize: 2048 bytes/workgroup (compile time only)
; SGPRBlocks: 0
; VGPRBlocks: 2
; NumSGPRsForWavesPerEU: 34
; NumVGPRsForWavesPerEU: 33
; NamedBarCnt: 0
; Occupancy: 16
; WaveLimiterHint : 1
; COMPUTE_PGM_RSRC2:SCRATCH_EN: 0
; COMPUTE_PGM_RSRC2:USER_SGPR: 2
; COMPUTE_PGM_RSRC2:TRAP_HANDLER: 0
; COMPUTE_PGM_RSRC2:TGID_X_EN: 1
; COMPUTE_PGM_RSRC2:TGID_Y_EN: 0
; COMPUTE_PGM_RSRC2:TGID_Z_EN: 0
; COMPUTE_PGM_RSRC2:TIDIG_COMP_CNT: 0
	.section	.text._ZN9rocsparseL13coomvt_kernelILj1024EiDF16_DF16_ffEEv20rocsparse_operation_lNS_24const_host_device_scalarIT4_EEPKT0_S7_PKT1_PKT2_PT3_21rocsparse_index_base_b,"axG",@progbits,_ZN9rocsparseL13coomvt_kernelILj1024EiDF16_DF16_ffEEv20rocsparse_operation_lNS_24const_host_device_scalarIT4_EEPKT0_S7_PKT1_PKT2_PT3_21rocsparse_index_base_b,comdat
	.globl	_ZN9rocsparseL13coomvt_kernelILj1024EiDF16_DF16_ffEEv20rocsparse_operation_lNS_24const_host_device_scalarIT4_EEPKT0_S7_PKT1_PKT2_PT3_21rocsparse_index_base_b ; -- Begin function _ZN9rocsparseL13coomvt_kernelILj1024EiDF16_DF16_ffEEv20rocsparse_operation_lNS_24const_host_device_scalarIT4_EEPKT0_S7_PKT1_PKT2_PT3_21rocsparse_index_base_b
	.p2align	8
	.type	_ZN9rocsparseL13coomvt_kernelILj1024EiDF16_DF16_ffEEv20rocsparse_operation_lNS_24const_host_device_scalarIT4_EEPKT0_S7_PKT1_PKT2_PT3_21rocsparse_index_base_b,@function
_ZN9rocsparseL13coomvt_kernelILj1024EiDF16_DF16_ffEEv20rocsparse_operation_lNS_24const_host_device_scalarIT4_EEPKT0_S7_PKT1_PKT2_PT3_21rocsparse_index_base_b: ; @_ZN9rocsparseL13coomvt_kernelILj1024EiDF16_DF16_ffEEv20rocsparse_operation_lNS_24const_host_device_scalarIT4_EEPKT0_S7_PKT1_PKT2_PT3_21rocsparse_index_base_b
; %bb.0:
	s_clause 0x1
	s_load_b64 s[2:3], s[0:1], 0x40
	s_load_b128 s[4:7], s[0:1], 0x8
	s_wait_kmcnt 0x0
	s_bitcmp1_b32 s3, 0
	s_cselect_b32 s3, -1, 0
	s_delay_alu instid0(SALU_CYCLE_1)
	s_and_b32 vcc_lo, exec_lo, s3
	s_cbranch_vccnz .LBB61_2
; %bb.1:
	s_load_b32 s6, s[6:7], 0x0
.LBB61_2:
	s_wait_kmcnt 0x0
	s_cmp_eq_f32 s6, 0
	s_cbranch_scc1 .LBB61_5
; %bb.3:
	s_load_b32 s3, s[0:1], 0x54
	s_bfe_u32 s7, ttmp6, 0x4000c
	s_and_b32 s8, ttmp6, 15
	s_add_co_i32 s7, s7, 1
	s_getreg_b32 s9, hwreg(HW_REG_IB_STS2, 6, 4)
	s_mul_i32 s7, ttmp9, s7
	v_mov_b32_e32 v1, 0
	s_add_co_i32 s8, s8, s7
	s_wait_kmcnt 0x0
	s_and_b32 s3, s3, 0xffff
	s_cmp_eq_u32 s9, 0
	s_cselect_b32 s7, ttmp9, s8
	s_delay_alu instid0(SALU_CYCLE_1) | instskip(SKIP_1) | instid1(VALU_DEP_1)
	v_mad_u32 v0, s7, s3, v0
	s_mov_b32 s3, exec_lo
	v_cmpx_gt_i64_e64 s[4:5], v[0:1]
	s_cbranch_execz .LBB61_5
; %bb.4:
	s_load_b256 s[8:15], s[0:1], 0x18
	v_lshlrev_b64_e32 v[2:3], 2, v[0:1]
	s_wait_xcnt 0x0
	s_load_b64 s[0:1], s[0:1], 0x38
	s_wait_kmcnt 0x0
	s_delay_alu instid0(VALU_DEP_1)
	v_add_nc_u64_e32 v[4:5], s[8:9], v[2:3]
	v_lshl_add_u64 v[0:1], v[0:1], 1, s[12:13]
	global_load_b32 v4, v[4:5], off
	global_load_u16 v5, v[0:1], off
	s_wait_xcnt 0x0
	v_add_nc_u64_e32 v[0:1], s[10:11], v[2:3]
	s_wait_loadcnt 0x1
	v_subrev_nc_u32_e32 v4, s2, v4
	global_load_u16 v2, v4, s[14:15] scale_offset
	global_load_b32 v3, v[0:1], off
	s_wait_loadcnt 0x2
	s_wait_xcnt 0x0
	v_cvt_f32_f16_e32 v0, v5
	s_delay_alu instid0(VALU_DEP_1) | instskip(SKIP_4) | instid1(VALU_DEP_2)
	v_mul_f32_e32 v0, s6, v0
	s_wait_loadcnt 0x1
	v_cvt_f32_f16_e32 v1, v2
	s_wait_loadcnt 0x0
	v_subrev_nc_u32_e32 v2, s2, v3
	v_mul_f32_e32 v0, v0, v1
	global_atomic_add_f32 v2, v0, s[0:1] scale_offset scope:SCOPE_DEV
.LBB61_5:
	s_endpgm
	.section	.rodata,"a",@progbits
	.p2align	6, 0x0
	.amdhsa_kernel _ZN9rocsparseL13coomvt_kernelILj1024EiDF16_DF16_ffEEv20rocsparse_operation_lNS_24const_host_device_scalarIT4_EEPKT0_S7_PKT1_PKT2_PT3_21rocsparse_index_base_b
		.amdhsa_group_segment_fixed_size 0
		.amdhsa_private_segment_fixed_size 0
		.amdhsa_kernarg_size 328
		.amdhsa_user_sgpr_count 2
		.amdhsa_user_sgpr_dispatch_ptr 0
		.amdhsa_user_sgpr_queue_ptr 0
		.amdhsa_user_sgpr_kernarg_segment_ptr 1
		.amdhsa_user_sgpr_dispatch_id 0
		.amdhsa_user_sgpr_kernarg_preload_length 0
		.amdhsa_user_sgpr_kernarg_preload_offset 0
		.amdhsa_user_sgpr_private_segment_size 0
		.amdhsa_wavefront_size32 1
		.amdhsa_uses_dynamic_stack 0
		.amdhsa_enable_private_segment 0
		.amdhsa_system_sgpr_workgroup_id_x 1
		.amdhsa_system_sgpr_workgroup_id_y 0
		.amdhsa_system_sgpr_workgroup_id_z 0
		.amdhsa_system_sgpr_workgroup_info 0
		.amdhsa_system_vgpr_workitem_id 0
		.amdhsa_next_free_vgpr 6
		.amdhsa_next_free_sgpr 16
		.amdhsa_named_barrier_count 0
		.amdhsa_reserve_vcc 1
		.amdhsa_float_round_mode_32 0
		.amdhsa_float_round_mode_16_64 0
		.amdhsa_float_denorm_mode_32 3
		.amdhsa_float_denorm_mode_16_64 3
		.amdhsa_fp16_overflow 0
		.amdhsa_memory_ordered 1
		.amdhsa_forward_progress 1
		.amdhsa_inst_pref_size 3
		.amdhsa_round_robin_scheduling 0
		.amdhsa_exception_fp_ieee_invalid_op 0
		.amdhsa_exception_fp_denorm_src 0
		.amdhsa_exception_fp_ieee_div_zero 0
		.amdhsa_exception_fp_ieee_overflow 0
		.amdhsa_exception_fp_ieee_underflow 0
		.amdhsa_exception_fp_ieee_inexact 0
		.amdhsa_exception_int_div_zero 0
	.end_amdhsa_kernel
	.section	.text._ZN9rocsparseL13coomvt_kernelILj1024EiDF16_DF16_ffEEv20rocsparse_operation_lNS_24const_host_device_scalarIT4_EEPKT0_S7_PKT1_PKT2_PT3_21rocsparse_index_base_b,"axG",@progbits,_ZN9rocsparseL13coomvt_kernelILj1024EiDF16_DF16_ffEEv20rocsparse_operation_lNS_24const_host_device_scalarIT4_EEPKT0_S7_PKT1_PKT2_PT3_21rocsparse_index_base_b,comdat
.Lfunc_end61:
	.size	_ZN9rocsparseL13coomvt_kernelILj1024EiDF16_DF16_ffEEv20rocsparse_operation_lNS_24const_host_device_scalarIT4_EEPKT0_S7_PKT1_PKT2_PT3_21rocsparse_index_base_b, .Lfunc_end61-_ZN9rocsparseL13coomvt_kernelILj1024EiDF16_DF16_ffEEv20rocsparse_operation_lNS_24const_host_device_scalarIT4_EEPKT0_S7_PKT1_PKT2_PT3_21rocsparse_index_base_b
                                        ; -- End function
	.set _ZN9rocsparseL13coomvt_kernelILj1024EiDF16_DF16_ffEEv20rocsparse_operation_lNS_24const_host_device_scalarIT4_EEPKT0_S7_PKT1_PKT2_PT3_21rocsparse_index_base_b.num_vgpr, 6
	.set _ZN9rocsparseL13coomvt_kernelILj1024EiDF16_DF16_ffEEv20rocsparse_operation_lNS_24const_host_device_scalarIT4_EEPKT0_S7_PKT1_PKT2_PT3_21rocsparse_index_base_b.num_agpr, 0
	.set _ZN9rocsparseL13coomvt_kernelILj1024EiDF16_DF16_ffEEv20rocsparse_operation_lNS_24const_host_device_scalarIT4_EEPKT0_S7_PKT1_PKT2_PT3_21rocsparse_index_base_b.numbered_sgpr, 16
	.set _ZN9rocsparseL13coomvt_kernelILj1024EiDF16_DF16_ffEEv20rocsparse_operation_lNS_24const_host_device_scalarIT4_EEPKT0_S7_PKT1_PKT2_PT3_21rocsparse_index_base_b.num_named_barrier, 0
	.set _ZN9rocsparseL13coomvt_kernelILj1024EiDF16_DF16_ffEEv20rocsparse_operation_lNS_24const_host_device_scalarIT4_EEPKT0_S7_PKT1_PKT2_PT3_21rocsparse_index_base_b.private_seg_size, 0
	.set _ZN9rocsparseL13coomvt_kernelILj1024EiDF16_DF16_ffEEv20rocsparse_operation_lNS_24const_host_device_scalarIT4_EEPKT0_S7_PKT1_PKT2_PT3_21rocsparse_index_base_b.uses_vcc, 1
	.set _ZN9rocsparseL13coomvt_kernelILj1024EiDF16_DF16_ffEEv20rocsparse_operation_lNS_24const_host_device_scalarIT4_EEPKT0_S7_PKT1_PKT2_PT3_21rocsparse_index_base_b.uses_flat_scratch, 0
	.set _ZN9rocsparseL13coomvt_kernelILj1024EiDF16_DF16_ffEEv20rocsparse_operation_lNS_24const_host_device_scalarIT4_EEPKT0_S7_PKT1_PKT2_PT3_21rocsparse_index_base_b.has_dyn_sized_stack, 0
	.set _ZN9rocsparseL13coomvt_kernelILj1024EiDF16_DF16_ffEEv20rocsparse_operation_lNS_24const_host_device_scalarIT4_EEPKT0_S7_PKT1_PKT2_PT3_21rocsparse_index_base_b.has_recursion, 0
	.set _ZN9rocsparseL13coomvt_kernelILj1024EiDF16_DF16_ffEEv20rocsparse_operation_lNS_24const_host_device_scalarIT4_EEPKT0_S7_PKT1_PKT2_PT3_21rocsparse_index_base_b.has_indirect_call, 0
	.section	.AMDGPU.csdata,"",@progbits
; Kernel info:
; codeLenInByte = 316
; TotalNumSgprs: 18
; NumVgprs: 6
; ScratchSize: 0
; MemoryBound: 0
; FloatMode: 240
; IeeeMode: 1
; LDSByteSize: 0 bytes/workgroup (compile time only)
; SGPRBlocks: 0
; VGPRBlocks: 0
; NumSGPRsForWavesPerEU: 18
; NumVGPRsForWavesPerEU: 6
; NamedBarCnt: 0
; Occupancy: 16
; WaveLimiterHint : 1
; COMPUTE_PGM_RSRC2:SCRATCH_EN: 0
; COMPUTE_PGM_RSRC2:USER_SGPR: 2
; COMPUTE_PGM_RSRC2:TRAP_HANDLER: 0
; COMPUTE_PGM_RSRC2:TGID_X_EN: 1
; COMPUTE_PGM_RSRC2:TGID_Y_EN: 0
; COMPUTE_PGM_RSRC2:TGID_Z_EN: 0
; COMPUTE_PGM_RSRC2:TIDIG_COMP_CNT: 0
	.section	.text._ZN9rocsparseL19coomvn_atomic_loopsILj256ELj1EiDF16_DF16_ffEEvlNS_24const_host_device_scalarIT5_EEPKT1_S6_PKT2_PKT3_PT4_21rocsparse_index_base_b,"axG",@progbits,_ZN9rocsparseL19coomvn_atomic_loopsILj256ELj1EiDF16_DF16_ffEEvlNS_24const_host_device_scalarIT5_EEPKT1_S6_PKT2_PKT3_PT4_21rocsparse_index_base_b,comdat
	.globl	_ZN9rocsparseL19coomvn_atomic_loopsILj256ELj1EiDF16_DF16_ffEEvlNS_24const_host_device_scalarIT5_EEPKT1_S6_PKT2_PKT3_PT4_21rocsparse_index_base_b ; -- Begin function _ZN9rocsparseL19coomvn_atomic_loopsILj256ELj1EiDF16_DF16_ffEEvlNS_24const_host_device_scalarIT5_EEPKT1_S6_PKT2_PKT3_PT4_21rocsparse_index_base_b
	.p2align	8
	.type	_ZN9rocsparseL19coomvn_atomic_loopsILj256ELj1EiDF16_DF16_ffEEvlNS_24const_host_device_scalarIT5_EEPKT1_S6_PKT2_PKT3_PT4_21rocsparse_index_base_b,@function
_ZN9rocsparseL19coomvn_atomic_loopsILj256ELj1EiDF16_DF16_ffEEvlNS_24const_host_device_scalarIT5_EEPKT1_S6_PKT2_PKT3_PT4_21rocsparse_index_base_b: ; @_ZN9rocsparseL19coomvn_atomic_loopsILj256ELj1EiDF16_DF16_ffEEvlNS_24const_host_device_scalarIT5_EEPKT1_S6_PKT2_PKT3_PT4_21rocsparse_index_base_b
; %bb.0:
	s_clause 0x1
	s_load_b64 s[2:3], s[0:1], 0x38
	s_load_b128 s[4:7], s[0:1], 0x0
	s_wait_kmcnt 0x0
	s_bitcmp1_b32 s3, 0
	s_cselect_b32 s3, -1, 0
	s_delay_alu instid0(SALU_CYCLE_1)
	s_and_b32 vcc_lo, exec_lo, s3
	s_cbranch_vccnz .LBB62_2
; %bb.1:
	s_load_b32 s6, s[6:7], 0x0
.LBB62_2:
	s_wait_kmcnt 0x0
	s_cmp_eq_f32 s6, 0
	s_cbranch_scc1 .LBB62_42
; %bb.3:
	s_bfe_u32 s3, ttmp6, 0x4000c
	s_and_b32 s7, ttmp6, 15
	s_add_co_i32 s3, s3, 1
	s_getreg_b32 s8, hwreg(HW_REG_IB_STS2, 6, 4)
	s_mul_i32 s3, ttmp9, s3
	v_dual_mov_b32 v3, 0 :: v_dual_mov_b32 v1, -1
	s_add_co_i32 s7, s7, s3
	s_cmp_eq_u32 s8, 0
	s_cselect_b32 s3, ttmp9, s7
	s_delay_alu instid0(SALU_CYCLE_1) | instskip(SKIP_1) | instid1(VALU_DEP_1)
	v_lshl_or_b32 v2, s3, 8, v0
	s_mov_b32 s3, exec_lo
	v_cmpx_gt_i64_e64 s[4:5], v[2:3]
	s_cbranch_execz .LBB62_5
; %bb.4:
	s_load_b256 s[8:15], s[0:1], 0x10
	v_lshlrev_b64_e32 v[4:5], 2, v[2:3]
	s_wait_kmcnt 0x0
	s_delay_alu instid0(VALU_DEP_1)
	v_add_nc_u64_e32 v[6:7], s[10:11], v[4:5]
	v_lshl_add_u64 v[2:3], v[2:3], 1, s[12:13]
	v_add_nc_u64_e32 v[4:5], s[8:9], v[4:5]
	global_load_b32 v1, v[6:7], off th:TH_LOAD_NT
	s_wait_loadcnt 0x0
	v_subrev_nc_u32_e32 v1, s2, v1
	global_load_u16 v6, v[2:3], off
	global_load_u16 v7, v1, s[14:15] scale_offset
	global_load_b32 v8, v[4:5], off th:TH_LOAD_NT
	s_wait_loadcnt 0x2
	s_wait_xcnt 0x2
	v_cvt_f32_f16_e32 v2, v6
	s_wait_loadcnt 0x1
	v_cvt_f32_f16_e32 v3, v7
	s_wait_loadcnt 0x0
	v_subrev_nc_u32_e32 v1, s2, v8
	s_delay_alu instid0(VALU_DEP_2)
	v_mul_f32_e32 v3, v2, v3
.LBB62_5:
	s_or_b32 exec_lo, exec_lo, s3
	v_lshlrev_b32_e32 v2, 2, v0
	s_mov_b32 s2, exec_lo
	s_delay_alu instid0(VALU_DEP_1)
	v_or_b32_e32 v4, 0x400, v2
	ds_store_2addr_stride64_b32 v2, v1, v3 offset1:4
	s_wait_dscnt 0x0
	s_barrier_signal -1
	s_barrier_wait -1
	v_cmpx_ne_u32_e32 0, v0
	s_cbranch_execz .LBB62_9
; %bb.6:
	v_add_nc_u32_e32 v5, -4, v2
	s_mov_b32 s3, exec_lo
	ds_load_b32 v5, v5
	s_wait_dscnt 0x0
	v_cmpx_eq_u32_e64 v1, v5
	s_cbranch_execz .LBB62_8
; %bb.7:
	v_add_nc_u32_e32 v5, -4, v4
	ds_load_b32 v5, v5
	s_wait_dscnt 0x0
	v_add_f32_e32 v3, v3, v5
.LBB62_8:
	s_or_b32 exec_lo, exec_lo, s3
.LBB62_9:
	s_delay_alu instid0(SALU_CYCLE_1) | instskip(NEXT) | instid1(SALU_CYCLE_1)
	s_or_b32 exec_lo, exec_lo, s2
	s_mov_b32 s2, exec_lo
	s_barrier_signal -1
	s_barrier_wait -1
	ds_store_b32 v4, v3
	s_wait_dscnt 0x0
	s_barrier_signal -1
	s_barrier_wait -1
	v_cmpx_lt_u32_e32 1, v0
	s_cbranch_execz .LBB62_13
; %bb.10:
	v_add_nc_u32_e32 v5, -8, v2
	s_mov_b32 s3, exec_lo
	ds_load_b32 v5, v5
	s_wait_dscnt 0x0
	v_cmpx_eq_u32_e64 v1, v5
	s_cbranch_execz .LBB62_12
; %bb.11:
	v_add_nc_u32_e32 v5, -8, v4
	ds_load_b32 v5, v5
	s_wait_dscnt 0x0
	v_add_f32_e32 v3, v3, v5
.LBB62_12:
	s_or_b32 exec_lo, exec_lo, s3
.LBB62_13:
	s_delay_alu instid0(SALU_CYCLE_1) | instskip(NEXT) | instid1(SALU_CYCLE_1)
	s_or_b32 exec_lo, exec_lo, s2
	s_mov_b32 s2, exec_lo
	s_barrier_signal -1
	s_barrier_wait -1
	ds_store_b32 v4, v3
	s_wait_dscnt 0x0
	s_barrier_signal -1
	s_barrier_wait -1
	v_cmpx_lt_u32_e32 3, v0
	;; [unrolled: 26-line block ×3, first 2 shown]
	s_cbranch_execz .LBB62_21
; %bb.18:
	v_subrev_nc_u32_e32 v5, 32, v2
	s_mov_b32 s3, exec_lo
	ds_load_b32 v5, v5
	s_wait_dscnt 0x0
	v_cmpx_eq_u32_e64 v1, v5
	s_cbranch_execz .LBB62_20
; %bb.19:
	v_subrev_nc_u32_e32 v5, 32, v4
	ds_load_b32 v5, v5
	s_wait_dscnt 0x0
	v_add_f32_e32 v3, v3, v5
.LBB62_20:
	s_or_b32 exec_lo, exec_lo, s3
.LBB62_21:
	s_delay_alu instid0(SALU_CYCLE_1) | instskip(NEXT) | instid1(SALU_CYCLE_1)
	s_or_b32 exec_lo, exec_lo, s2
	s_mov_b32 s2, exec_lo
	s_barrier_signal -1
	s_barrier_wait -1
	ds_store_b32 v4, v3
	s_wait_dscnt 0x0
	s_barrier_signal -1
	s_barrier_wait -1
	v_cmpx_lt_u32_e32 15, v0
	s_cbranch_execz .LBB62_25
; %bb.22:
	v_subrev_nc_u32_e32 v5, 64, v2
	s_mov_b32 s3, exec_lo
	ds_load_b32 v5, v5
	s_wait_dscnt 0x0
	v_cmpx_eq_u32_e64 v1, v5
	s_cbranch_execz .LBB62_24
; %bb.23:
	v_subrev_nc_u32_e32 v5, 64, v4
	ds_load_b32 v5, v5
	s_wait_dscnt 0x0
	v_add_f32_e32 v3, v3, v5
.LBB62_24:
	s_or_b32 exec_lo, exec_lo, s3
.LBB62_25:
	s_delay_alu instid0(SALU_CYCLE_1) | instskip(NEXT) | instid1(SALU_CYCLE_1)
	s_or_b32 exec_lo, exec_lo, s2
	s_mov_b32 s2, exec_lo
	s_barrier_signal -1
	s_barrier_wait -1
	ds_store_b32 v4, v3
	s_wait_dscnt 0x0
	s_barrier_signal -1
	s_barrier_wait -1
	v_cmpx_lt_u32_e32 31, v0
	s_cbranch_execz .LBB62_29
; %bb.26:
	v_add_nc_u32_e32 v5, 0xffffff80, v2
	s_mov_b32 s3, exec_lo
	ds_load_b32 v5, v5
	s_wait_dscnt 0x0
	v_cmpx_eq_u32_e64 v1, v5
	s_cbranch_execz .LBB62_28
; %bb.27:
	v_add_nc_u32_e32 v5, 0xffffff80, v4
	ds_load_b32 v5, v5
	s_wait_dscnt 0x0
	v_add_f32_e32 v3, v3, v5
.LBB62_28:
	s_or_b32 exec_lo, exec_lo, s3
.LBB62_29:
	s_delay_alu instid0(SALU_CYCLE_1) | instskip(NEXT) | instid1(SALU_CYCLE_1)
	s_or_b32 exec_lo, exec_lo, s2
	s_mov_b32 s2, exec_lo
	s_barrier_signal -1
	s_barrier_wait -1
	ds_store_b32 v4, v3
	s_wait_dscnt 0x0
	s_barrier_signal -1
	s_barrier_wait -1
	v_cmpx_lt_u32_e32 63, v0
	s_cbranch_execz .LBB62_33
; %bb.30:
	v_add_nc_u32_e32 v5, 0xffffff00, v2
	s_mov_b32 s3, exec_lo
	ds_load_b32 v5, v5
	s_wait_dscnt 0x0
	v_cmpx_eq_u32_e64 v1, v5
	s_cbranch_execz .LBB62_32
; %bb.31:
	v_add_nc_u32_e32 v5, 0xffffff00, v4
	ds_load_b32 v5, v5
	s_wait_dscnt 0x0
	v_add_f32_e32 v3, v3, v5
.LBB62_32:
	s_or_b32 exec_lo, exec_lo, s3
.LBB62_33:
	s_delay_alu instid0(SALU_CYCLE_1)
	s_or_b32 exec_lo, exec_lo, s2
	s_load_b64 s[2:3], s[0:1], 0x30
	s_wait_xcnt 0x0
	s_mov_b32 s0, exec_lo
	s_barrier_signal -1
	s_barrier_wait -1
	ds_store_b32 v4, v3
	s_wait_dscnt 0x0
	s_barrier_signal -1
	s_barrier_wait -1
	v_cmpx_lt_u32_e32 0x7f, v0
	s_cbranch_execz .LBB62_37
; %bb.34:
	v_add_nc_u32_e32 v5, 0xfffffe00, v2
	s_mov_b32 s1, exec_lo
	ds_load_b32 v5, v5
	s_wait_dscnt 0x0
	v_cmpx_eq_u32_e64 v1, v5
	s_cbranch_execz .LBB62_36
; %bb.35:
	v_add_nc_u32_e32 v5, 0xfffffe00, v4
	ds_load_b32 v5, v5
	s_wait_dscnt 0x0
	v_add_f32_e32 v3, v3, v5
.LBB62_36:
	s_or_b32 exec_lo, exec_lo, s1
.LBB62_37:
	s_delay_alu instid0(SALU_CYCLE_1) | instskip(NEXT) | instid1(SALU_CYCLE_1)
	s_or_b32 exec_lo, exec_lo, s0
	s_mov_b32 s1, exec_lo
	s_barrier_signal -1
	s_barrier_wait -1
	ds_store_b32 v4, v3
	s_wait_dscnt 0x0
	s_barrier_signal -1
	s_barrier_wait -1
	v_cmpx_gt_u32_e32 0xff, v0
	s_cbranch_execz .LBB62_40
; %bb.38:
	ds_load_b32 v2, v2 offset:4
	v_cmp_lt_i32_e64 s0, -1, v1
	s_wait_dscnt 0x0
	v_cmp_ne_u32_e32 vcc_lo, v1, v2
	s_and_b32 s0, s0, vcc_lo
	s_delay_alu instid0(SALU_CYCLE_1)
	s_and_b32 exec_lo, exec_lo, s0
	s_cbranch_execz .LBB62_40
; %bb.39:
	v_mul_f32_e32 v2, s6, v3
	s_wait_kmcnt 0x0
	global_atomic_add_f32 v1, v2, s[2:3] scale_offset scope:SCOPE_DEV
.LBB62_40:
	s_wait_xcnt 0x0
	s_or_b32 exec_lo, exec_lo, s1
	v_cmp_eq_u32_e32 vcc_lo, 0xff, v0
	v_cmp_lt_i32_e64 s0, -1, v1
	s_and_b32 s0, vcc_lo, s0
	s_delay_alu instid0(SALU_CYCLE_1)
	s_and_saveexec_b32 s1, s0
	s_cbranch_execz .LBB62_42
; %bb.41:
	v_mul_f32_e32 v0, s6, v3
	s_wait_kmcnt 0x0
	global_atomic_add_f32 v1, v0, s[2:3] scale_offset scope:SCOPE_DEV
.LBB62_42:
	s_endpgm
	.section	.rodata,"a",@progbits
	.p2align	6, 0x0
	.amdhsa_kernel _ZN9rocsparseL19coomvn_atomic_loopsILj256ELj1EiDF16_DF16_ffEEvlNS_24const_host_device_scalarIT5_EEPKT1_S6_PKT2_PKT3_PT4_21rocsparse_index_base_b
		.amdhsa_group_segment_fixed_size 2048
		.amdhsa_private_segment_fixed_size 0
		.amdhsa_kernarg_size 64
		.amdhsa_user_sgpr_count 2
		.amdhsa_user_sgpr_dispatch_ptr 0
		.amdhsa_user_sgpr_queue_ptr 0
		.amdhsa_user_sgpr_kernarg_segment_ptr 1
		.amdhsa_user_sgpr_dispatch_id 0
		.amdhsa_user_sgpr_kernarg_preload_length 0
		.amdhsa_user_sgpr_kernarg_preload_offset 0
		.amdhsa_user_sgpr_private_segment_size 0
		.amdhsa_wavefront_size32 1
		.amdhsa_uses_dynamic_stack 0
		.amdhsa_enable_private_segment 0
		.amdhsa_system_sgpr_workgroup_id_x 1
		.amdhsa_system_sgpr_workgroup_id_y 0
		.amdhsa_system_sgpr_workgroup_id_z 0
		.amdhsa_system_sgpr_workgroup_info 0
		.amdhsa_system_vgpr_workitem_id 0
		.amdhsa_next_free_vgpr 9
		.amdhsa_next_free_sgpr 16
		.amdhsa_named_barrier_count 0
		.amdhsa_reserve_vcc 1
		.amdhsa_float_round_mode_32 0
		.amdhsa_float_round_mode_16_64 0
		.amdhsa_float_denorm_mode_32 3
		.amdhsa_float_denorm_mode_16_64 3
		.amdhsa_fp16_overflow 0
		.amdhsa_memory_ordered 1
		.amdhsa_forward_progress 1
		.amdhsa_inst_pref_size 11
		.amdhsa_round_robin_scheduling 0
		.amdhsa_exception_fp_ieee_invalid_op 0
		.amdhsa_exception_fp_denorm_src 0
		.amdhsa_exception_fp_ieee_div_zero 0
		.amdhsa_exception_fp_ieee_overflow 0
		.amdhsa_exception_fp_ieee_underflow 0
		.amdhsa_exception_fp_ieee_inexact 0
		.amdhsa_exception_int_div_zero 0
	.end_amdhsa_kernel
	.section	.text._ZN9rocsparseL19coomvn_atomic_loopsILj256ELj1EiDF16_DF16_ffEEvlNS_24const_host_device_scalarIT5_EEPKT1_S6_PKT2_PKT3_PT4_21rocsparse_index_base_b,"axG",@progbits,_ZN9rocsparseL19coomvn_atomic_loopsILj256ELj1EiDF16_DF16_ffEEvlNS_24const_host_device_scalarIT5_EEPKT1_S6_PKT2_PKT3_PT4_21rocsparse_index_base_b,comdat
.Lfunc_end62:
	.size	_ZN9rocsparseL19coomvn_atomic_loopsILj256ELj1EiDF16_DF16_ffEEvlNS_24const_host_device_scalarIT5_EEPKT1_S6_PKT2_PKT3_PT4_21rocsparse_index_base_b, .Lfunc_end62-_ZN9rocsparseL19coomvn_atomic_loopsILj256ELj1EiDF16_DF16_ffEEvlNS_24const_host_device_scalarIT5_EEPKT1_S6_PKT2_PKT3_PT4_21rocsparse_index_base_b
                                        ; -- End function
	.set _ZN9rocsparseL19coomvn_atomic_loopsILj256ELj1EiDF16_DF16_ffEEvlNS_24const_host_device_scalarIT5_EEPKT1_S6_PKT2_PKT3_PT4_21rocsparse_index_base_b.num_vgpr, 9
	.set _ZN9rocsparseL19coomvn_atomic_loopsILj256ELj1EiDF16_DF16_ffEEvlNS_24const_host_device_scalarIT5_EEPKT1_S6_PKT2_PKT3_PT4_21rocsparse_index_base_b.num_agpr, 0
	.set _ZN9rocsparseL19coomvn_atomic_loopsILj256ELj1EiDF16_DF16_ffEEvlNS_24const_host_device_scalarIT5_EEPKT1_S6_PKT2_PKT3_PT4_21rocsparse_index_base_b.numbered_sgpr, 16
	.set _ZN9rocsparseL19coomvn_atomic_loopsILj256ELj1EiDF16_DF16_ffEEvlNS_24const_host_device_scalarIT5_EEPKT1_S6_PKT2_PKT3_PT4_21rocsparse_index_base_b.num_named_barrier, 0
	.set _ZN9rocsparseL19coomvn_atomic_loopsILj256ELj1EiDF16_DF16_ffEEvlNS_24const_host_device_scalarIT5_EEPKT1_S6_PKT2_PKT3_PT4_21rocsparse_index_base_b.private_seg_size, 0
	.set _ZN9rocsparseL19coomvn_atomic_loopsILj256ELj1EiDF16_DF16_ffEEvlNS_24const_host_device_scalarIT5_EEPKT1_S6_PKT2_PKT3_PT4_21rocsparse_index_base_b.uses_vcc, 1
	.set _ZN9rocsparseL19coomvn_atomic_loopsILj256ELj1EiDF16_DF16_ffEEvlNS_24const_host_device_scalarIT5_EEPKT1_S6_PKT2_PKT3_PT4_21rocsparse_index_base_b.uses_flat_scratch, 0
	.set _ZN9rocsparseL19coomvn_atomic_loopsILj256ELj1EiDF16_DF16_ffEEvlNS_24const_host_device_scalarIT5_EEPKT1_S6_PKT2_PKT3_PT4_21rocsparse_index_base_b.has_dyn_sized_stack, 0
	.set _ZN9rocsparseL19coomvn_atomic_loopsILj256ELj1EiDF16_DF16_ffEEvlNS_24const_host_device_scalarIT5_EEPKT1_S6_PKT2_PKT3_PT4_21rocsparse_index_base_b.has_recursion, 0
	.set _ZN9rocsparseL19coomvn_atomic_loopsILj256ELj1EiDF16_DF16_ffEEvlNS_24const_host_device_scalarIT5_EEPKT1_S6_PKT2_PKT3_PT4_21rocsparse_index_base_b.has_indirect_call, 0
	.section	.AMDGPU.csdata,"",@progbits
; Kernel info:
; codeLenInByte = 1320
; TotalNumSgprs: 18
; NumVgprs: 9
; ScratchSize: 0
; MemoryBound: 0
; FloatMode: 240
; IeeeMode: 1
; LDSByteSize: 2048 bytes/workgroup (compile time only)
; SGPRBlocks: 0
; VGPRBlocks: 0
; NumSGPRsForWavesPerEU: 18
; NumVGPRsForWavesPerEU: 9
; NamedBarCnt: 0
; Occupancy: 16
; WaveLimiterHint : 1
; COMPUTE_PGM_RSRC2:SCRATCH_EN: 0
; COMPUTE_PGM_RSRC2:USER_SGPR: 2
; COMPUTE_PGM_RSRC2:TRAP_HANDLER: 0
; COMPUTE_PGM_RSRC2:TGID_X_EN: 1
; COMPUTE_PGM_RSRC2:TGID_Y_EN: 0
; COMPUTE_PGM_RSRC2:TGID_Z_EN: 0
; COMPUTE_PGM_RSRC2:TIDIG_COMP_CNT: 0
	.section	.text._ZN9rocsparseL19coomvn_atomic_loopsILj256ELj2EiDF16_DF16_ffEEvlNS_24const_host_device_scalarIT5_EEPKT1_S6_PKT2_PKT3_PT4_21rocsparse_index_base_b,"axG",@progbits,_ZN9rocsparseL19coomvn_atomic_loopsILj256ELj2EiDF16_DF16_ffEEvlNS_24const_host_device_scalarIT5_EEPKT1_S6_PKT2_PKT3_PT4_21rocsparse_index_base_b,comdat
	.globl	_ZN9rocsparseL19coomvn_atomic_loopsILj256ELj2EiDF16_DF16_ffEEvlNS_24const_host_device_scalarIT5_EEPKT1_S6_PKT2_PKT3_PT4_21rocsparse_index_base_b ; -- Begin function _ZN9rocsparseL19coomvn_atomic_loopsILj256ELj2EiDF16_DF16_ffEEvlNS_24const_host_device_scalarIT5_EEPKT1_S6_PKT2_PKT3_PT4_21rocsparse_index_base_b
	.p2align	8
	.type	_ZN9rocsparseL19coomvn_atomic_loopsILj256ELj2EiDF16_DF16_ffEEvlNS_24const_host_device_scalarIT5_EEPKT1_S6_PKT2_PKT3_PT4_21rocsparse_index_base_b,@function
_ZN9rocsparseL19coomvn_atomic_loopsILj256ELj2EiDF16_DF16_ffEEvlNS_24const_host_device_scalarIT5_EEPKT1_S6_PKT2_PKT3_PT4_21rocsparse_index_base_b: ; @_ZN9rocsparseL19coomvn_atomic_loopsILj256ELj2EiDF16_DF16_ffEEvlNS_24const_host_device_scalarIT5_EEPKT1_S6_PKT2_PKT3_PT4_21rocsparse_index_base_b
; %bb.0:
	s_clause 0x1
	s_load_b64 s[24:25], s[0:1], 0x38
	s_load_b128 s[20:23], s[0:1], 0x0
	s_wait_kmcnt 0x0
	s_bitcmp1_b32 s25, 0
	s_cselect_b32 s2, -1, 0
	s_delay_alu instid0(SALU_CYCLE_1)
	s_and_b32 vcc_lo, exec_lo, s2
	s_cbranch_vccnz .LBB63_2
; %bb.1:
	s_load_b32 s22, s[22:23], 0x0
.LBB63_2:
	s_wait_kmcnt 0x0
	s_cmp_eq_f32 s22, 0
	s_cbranch_scc1 .LBB63_88
; %bb.3:
	s_load_b256 s[12:19], s[0:1], 0x10
	s_bfe_u32 s2, ttmp6, 0x4000c
	s_and_b32 s3, ttmp6, 15
	s_add_co_i32 s2, s2, 1
	s_getreg_b32 s4, hwreg(HW_REG_IB_STS2, 6, 4)
	s_mul_i32 s2, ttmp9, s2
	v_dual_mov_b32 v7, 0 :: v_dual_mov_b32 v17, -1
	s_add_co_i32 s3, s3, s2
	s_cmp_eq_u32 s4, 0
	s_cselect_b32 s2, ttmp9, s3
	s_delay_alu instid0(VALU_DEP_1) | instskip(SKIP_2) | instid1(VALU_DEP_1)
	v_mov_b32_e32 v18, v7
	v_lshl_or_b32 v6, s2, 9, v0
	s_mov_b32 s2, exec_lo
	v_lshlrev_b64_e32 v[4:5], 2, v[6:7]
	s_wait_kmcnt 0x0
	v_lshl_add_u64 v[2:3], v[6:7], 1, s[16:17]
	v_cmpx_gt_i64_e64 s[20:21], v[6:7]
	s_cbranch_execz .LBB63_5
; %bb.4:
	s_delay_alu instid0(VALU_DEP_3)
	v_add_nc_u64_e32 v[8:9], s[14:15], v[4:5]
	global_load_b32 v1, v[8:9], off th:TH_LOAD_NT
	s_wait_xcnt 0x0
	v_add_nc_u64_e32 v[8:9], s[12:13], v[4:5]
	s_wait_loadcnt 0x0
	v_subrev_nc_u32_e32 v1, s24, v1
	global_load_u16 v10, v[2:3], off
	global_load_u16 v11, v1, s[18:19] scale_offset
	global_load_b32 v12, v[8:9], off th:TH_LOAD_NT
	s_wait_loadcnt 0x2
	s_wait_xcnt 0x1
	v_cvt_f32_f16_e32 v1, v10
	s_wait_loadcnt 0x1
	s_wait_xcnt 0x0
	v_cvt_f32_f16_e32 v8, v11
	s_wait_loadcnt 0x0
	v_subrev_nc_u32_e32 v17, s24, v12
	s_delay_alu instid0(VALU_DEP_2)
	v_mul_f32_e32 v18, v1, v8
.LBB63_5:
	s_or_b32 exec_lo, exec_lo, s2
	v_lshlrev_b32_e32 v1, 2, v0
	v_cmp_ne_u32_e64 s2, 0, v0
	v_cmp_eq_u32_e32 vcc_lo, 0, v0
	s_delay_alu instid0(VALU_DEP_3)
	v_or_b32_e32 v8, 0x400, v1
	v_add_nc_u32_e32 v9, -4, v1
	ds_store_2addr_stride64_b32 v1, v17, v18 offset1:4
	s_wait_dscnt 0x0
	s_barrier_signal -1
	s_barrier_wait -1
	s_and_saveexec_b32 s4, s2
	s_cbranch_execz .LBB63_9
; %bb.6:
	ds_load_b32 v10, v9
	s_mov_b32 s5, exec_lo
	s_wait_dscnt 0x0
	v_cmpx_eq_u32_e64 v17, v10
	s_cbranch_execz .LBB63_8
; %bb.7:
	v_add_nc_u32_e32 v10, -4, v8
	ds_load_b32 v10, v10
	s_wait_dscnt 0x0
	v_add_f32_e32 v18, v18, v10
.LBB63_8:
	s_or_b32 exec_lo, exec_lo, s5
.LBB63_9:
	s_delay_alu instid0(SALU_CYCLE_1)
	s_or_b32 exec_lo, exec_lo, s4
	v_cmp_lt_u32_e64 s3, 1, v0
	v_add_nc_u32_e32 v10, -8, v1
	s_barrier_signal -1
	s_barrier_wait -1
	ds_store_b32 v8, v18
	s_wait_dscnt 0x0
	s_barrier_signal -1
	s_barrier_wait -1
	s_and_saveexec_b32 s5, s3
	s_cbranch_execz .LBB63_13
; %bb.10:
	ds_load_b32 v11, v10
	s_mov_b32 s6, exec_lo
	s_wait_dscnt 0x0
	v_cmpx_eq_u32_e64 v17, v11
	s_cbranch_execz .LBB63_12
; %bb.11:
	v_add_nc_u32_e32 v11, -8, v8
	ds_load_b32 v11, v11
	s_wait_dscnt 0x0
	v_add_f32_e32 v18, v18, v11
.LBB63_12:
	s_or_b32 exec_lo, exec_lo, s6
.LBB63_13:
	s_delay_alu instid0(SALU_CYCLE_1)
	s_or_b32 exec_lo, exec_lo, s5
	v_cmp_lt_u32_e64 s4, 3, v0
	v_add_nc_u32_e32 v11, -16, v1
	s_barrier_signal -1
	s_barrier_wait -1
	ds_store_b32 v8, v18
	s_wait_dscnt 0x0
	s_barrier_signal -1
	s_barrier_wait -1
	s_and_saveexec_b32 s6, s4
	s_cbranch_execz .LBB63_17
; %bb.14:
	ds_load_b32 v12, v11
	s_mov_b32 s7, exec_lo
	s_wait_dscnt 0x0
	v_cmpx_eq_u32_e64 v17, v12
	s_cbranch_execz .LBB63_16
; %bb.15:
	v_add_nc_u32_e32 v12, -16, v8
	ds_load_b32 v12, v12
	s_wait_dscnt 0x0
	v_add_f32_e32 v18, v18, v12
.LBB63_16:
	s_or_b32 exec_lo, exec_lo, s7
.LBB63_17:
	s_delay_alu instid0(SALU_CYCLE_1)
	s_or_b32 exec_lo, exec_lo, s6
	v_cmp_lt_u32_e64 s5, 7, v0
	v_subrev_nc_u32_e32 v12, 32, v1
	s_barrier_signal -1
	s_barrier_wait -1
	ds_store_b32 v8, v18
	s_wait_dscnt 0x0
	s_barrier_signal -1
	s_barrier_wait -1
	s_and_saveexec_b32 s7, s5
	s_cbranch_execz .LBB63_21
; %bb.18:
	ds_load_b32 v13, v12
	s_mov_b32 s8, exec_lo
	s_wait_dscnt 0x0
	v_cmpx_eq_u32_e64 v17, v13
	s_cbranch_execz .LBB63_20
; %bb.19:
	v_subrev_nc_u32_e32 v13, 32, v8
	ds_load_b32 v13, v13
	s_wait_dscnt 0x0
	v_add_f32_e32 v18, v18, v13
.LBB63_20:
	s_or_b32 exec_lo, exec_lo, s8
.LBB63_21:
	s_delay_alu instid0(SALU_CYCLE_1)
	s_or_b32 exec_lo, exec_lo, s7
	v_cmp_lt_u32_e64 s6, 15, v0
	v_subrev_nc_u32_e32 v13, 64, v1
	s_barrier_signal -1
	s_barrier_wait -1
	ds_store_b32 v8, v18
	s_wait_dscnt 0x0
	s_barrier_signal -1
	s_barrier_wait -1
	s_and_saveexec_b32 s8, s6
	s_cbranch_execz .LBB63_25
; %bb.22:
	ds_load_b32 v14, v13
	s_mov_b32 s9, exec_lo
	s_wait_dscnt 0x0
	v_cmpx_eq_u32_e64 v17, v14
	s_cbranch_execz .LBB63_24
; %bb.23:
	v_subrev_nc_u32_e32 v14, 64, v8
	ds_load_b32 v14, v14
	s_wait_dscnt 0x0
	v_add_f32_e32 v18, v18, v14
.LBB63_24:
	s_or_b32 exec_lo, exec_lo, s9
.LBB63_25:
	s_delay_alu instid0(SALU_CYCLE_1)
	s_or_b32 exec_lo, exec_lo, s8
	v_cmp_lt_u32_e64 s7, 31, v0
	v_add_nc_u32_e32 v14, 0xffffff80, v1
	s_barrier_signal -1
	s_barrier_wait -1
	ds_store_b32 v8, v18
	s_wait_dscnt 0x0
	s_barrier_signal -1
	s_barrier_wait -1
	s_and_saveexec_b32 s9, s7
	s_cbranch_execz .LBB63_29
; %bb.26:
	ds_load_b32 v15, v14
	s_mov_b32 s10, exec_lo
	s_wait_dscnt 0x0
	v_cmpx_eq_u32_e64 v17, v15
	s_cbranch_execz .LBB63_28
; %bb.27:
	v_add_nc_u32_e32 v15, 0xffffff80, v8
	ds_load_b32 v15, v15
	s_wait_dscnt 0x0
	v_add_f32_e32 v18, v18, v15
.LBB63_28:
	s_or_b32 exec_lo, exec_lo, s10
.LBB63_29:
	s_delay_alu instid0(SALU_CYCLE_1)
	s_or_b32 exec_lo, exec_lo, s9
	v_cmp_lt_u32_e64 s8, 63, v0
	v_add_nc_u32_e32 v15, 0xffffff00, v1
	s_barrier_signal -1
	s_barrier_wait -1
	ds_store_b32 v8, v18
	s_wait_dscnt 0x0
	s_barrier_signal -1
	s_barrier_wait -1
	s_and_saveexec_b32 s10, s8
	s_cbranch_execz .LBB63_33
; %bb.30:
	ds_load_b32 v16, v15
	s_mov_b32 s11, exec_lo
	s_wait_dscnt 0x0
	v_cmpx_eq_u32_e64 v17, v16
	s_cbranch_execz .LBB63_32
; %bb.31:
	v_add_nc_u32_e32 v16, 0xffffff00, v8
	ds_load_b32 v16, v16
	s_wait_dscnt 0x0
	v_add_f32_e32 v18, v18, v16
.LBB63_32:
	s_or_b32 exec_lo, exec_lo, s11
.LBB63_33:
	s_delay_alu instid0(SALU_CYCLE_1)
	s_or_b32 exec_lo, exec_lo, s10
	s_load_b64 s[16:17], s[0:1], 0x30
	s_wait_xcnt 0x0
	v_cmp_lt_u32_e64 s0, 0x7f, v0
	v_add_nc_u32_e32 v16, 0xfffffe00, v1
	s_barrier_signal -1
	s_barrier_wait -1
	ds_store_b32 v8, v18
	s_wait_dscnt 0x0
	s_barrier_signal -1
	s_barrier_wait -1
	s_and_saveexec_b32 s9, s0
	s_cbranch_execz .LBB63_37
; %bb.34:
	ds_load_b32 v19, v16
	s_mov_b32 s10, exec_lo
	s_wait_dscnt 0x0
	v_cmpx_eq_u32_e64 v17, v19
	s_cbranch_execz .LBB63_36
; %bb.35:
	v_add_nc_u32_e32 v19, 0xfffffe00, v8
	ds_load_b32 v19, v19
	s_wait_dscnt 0x0
	v_add_f32_e32 v18, v18, v19
.LBB63_36:
	s_or_b32 exec_lo, exec_lo, s10
.LBB63_37:
	s_delay_alu instid0(SALU_CYCLE_1)
	s_or_b32 exec_lo, exec_lo, s9
	v_cmp_gt_u32_e64 s1, 0xff, v0
	s_barrier_signal -1
	s_barrier_wait -1
	ds_store_b32 v8, v18
	s_wait_dscnt 0x0
	s_barrier_signal -1
	s_barrier_wait -1
	s_and_saveexec_b32 s11, s1
	s_cbranch_execz .LBB63_40
; %bb.38:
	ds_load_b32 v19, v1 offset:4
	v_cmp_lt_i32_e64 s10, -1, v17
	s_wait_dscnt 0x0
	v_cmp_ne_u32_e64 s9, v17, v19
	s_and_b32 s9, s10, s9
	s_delay_alu instid0(SALU_CYCLE_1)
	s_and_b32 exec_lo, exec_lo, s9
	s_cbranch_execz .LBB63_40
; %bb.39:
	v_mul_f32_e32 v18, s22, v18
	s_wait_kmcnt 0x0
	global_atomic_add_f32 v17, v18, s[16:17] scale_offset scope:SCOPE_DEV
.LBB63_40:
	s_wait_xcnt 0x0
	s_or_b32 exec_lo, exec_lo, s11
	v_add_nc_u64_e32 v[6:7], 0x100, v[6:7]
	s_delay_alu instid0(VALU_DEP_1)
	v_cmp_gt_i64_e64 s9, s[20:21], v[6:7]
	v_dual_mov_b32 v6, -1 :: v_dual_mov_b32 v7, 0
	s_and_saveexec_b32 s10, s9
	s_cbranch_execz .LBB63_42
; %bb.41:
	v_add_nc_u64_e32 v[6:7], s[14:15], v[4:5]
	v_add_nc_u64_e32 v[4:5], s[12:13], v[4:5]
	global_load_b32 v6, v[6:7], off offset:1024 th:TH_LOAD_NT
	s_wait_loadcnt 0x0
	v_subrev_nc_u32_e32 v6, s24, v6
	global_load_u16 v7, v[2:3], off offset:512
	global_load_u16 v17, v6, s[18:19] scale_offset
	global_load_b32 v18, v[4:5], off offset:1024 th:TH_LOAD_NT
	s_wait_loadcnt 0x2
	s_wait_xcnt 0x2
	v_cvt_f32_f16_e32 v2, v7
	s_wait_loadcnt 0x1
	v_cvt_f32_f16_e32 v3, v17
	s_wait_loadcnt 0x0
	s_wait_xcnt 0x1
	v_subrev_nc_u32_e32 v6, s24, v18
	s_delay_alu instid0(VALU_DEP_2)
	v_mul_f32_e32 v7, v2, v3
.LBB63_42:
	s_wait_xcnt 0x0
	s_or_b32 exec_lo, exec_lo, s10
	s_and_saveexec_b32 s9, vcc_lo
	s_cbranch_execz .LBB63_51
; %bb.43:
	v_mov_b32_e32 v2, 0
	s_mov_b32 s10, exec_lo
	ds_load_b32 v2, v2 offset:1020
	s_wait_dscnt 0x0
	v_cmpx_ne_u32_e64 v6, v2
	s_xor_b32 s10, exec_lo, s10
	s_cbranch_execz .LBB63_48
; %bb.44:
	v_cmp_gt_i32_e32 vcc_lo, 0, v2
	s_cbranch_vccnz .LBB63_48
; %bb.45:
	s_mov_b32 s12, exec_lo
	s_mov_b32 s11, exec_lo
	v_mbcnt_lo_u32_b32 v3, s12, 0
	s_delay_alu instid0(VALU_DEP_1)
	v_cmpx_eq_u32_e32 0, v3
	s_cbranch_execz .LBB63_47
; %bb.46:
	v_mov_b32_e32 v3, 0
	s_bcnt1_i32_b32 s12, s12
	s_delay_alu instid0(SALU_CYCLE_1) | instskip(SKIP_3) | instid1(VALU_DEP_1)
	v_cvt_f32_ubyte0_e32 v4, s12
	ds_load_b32 v3, v3 offset:2044
	s_wait_dscnt 0x0
	v_mul_f32_e32 v3, s22, v3
	v_mul_f32_e32 v3, v3, v4
	s_wait_kmcnt 0x0
	global_atomic_add_f32 v2, v3, s[16:17] scale_offset scope:SCOPE_DEV
.LBB63_47:
	s_wait_xcnt 0x0
	s_or_b32 exec_lo, exec_lo, s11
.LBB63_48:
	s_and_not1_saveexec_b32 s10, s10
	s_cbranch_execz .LBB63_50
; %bb.49:
	v_mov_b32_e32 v2, 0
	ds_load_b32 v2, v2 offset:2044
	s_wait_dscnt 0x0
	v_add_f32_e32 v7, v7, v2
.LBB63_50:
	s_or_b32 exec_lo, exec_lo, s10
.LBB63_51:
	s_delay_alu instid0(SALU_CYCLE_1)
	s_or_b32 exec_lo, exec_lo, s9
	s_wait_storecnt 0x0
	s_barrier_signal -1
	s_barrier_wait -1
	ds_store_b32 v1, v6
	ds_store_b32 v8, v7
	s_wait_dscnt 0x0
	s_barrier_signal -1
	s_barrier_wait -1
	s_and_saveexec_b32 s9, s2
	s_cbranch_execz .LBB63_55
; %bb.52:
	ds_load_b32 v2, v9
	s_mov_b32 s2, exec_lo
	s_wait_dscnt 0x0
	v_cmpx_eq_u32_e64 v6, v2
	s_cbranch_execz .LBB63_54
; %bb.53:
	v_add_nc_u32_e32 v2, -4, v8
	ds_load_b32 v2, v2
	s_wait_dscnt 0x0
	v_add_f32_e32 v7, v7, v2
.LBB63_54:
	s_or_b32 exec_lo, exec_lo, s2
.LBB63_55:
	s_delay_alu instid0(SALU_CYCLE_1)
	s_or_b32 exec_lo, exec_lo, s9
	s_barrier_signal -1
	s_barrier_wait -1
	ds_store_b32 v8, v7
	s_wait_dscnt 0x0
	s_barrier_signal -1
	s_barrier_wait -1
	s_and_saveexec_b32 s2, s3
	s_cbranch_execz .LBB63_59
; %bb.56:
	ds_load_b32 v2, v10
	s_mov_b32 s3, exec_lo
	s_wait_dscnt 0x0
	v_cmpx_eq_u32_e64 v6, v2
	s_cbranch_execz .LBB63_58
; %bb.57:
	v_add_nc_u32_e32 v2, -8, v8
	ds_load_b32 v2, v2
	s_wait_dscnt 0x0
	v_add_f32_e32 v7, v7, v2
.LBB63_58:
	s_or_b32 exec_lo, exec_lo, s3
.LBB63_59:
	s_delay_alu instid0(SALU_CYCLE_1)
	s_or_b32 exec_lo, exec_lo, s2
	s_barrier_signal -1
	s_barrier_wait -1
	;; [unrolled: 24-line block ×3, first 2 shown]
	ds_store_b32 v8, v7
	s_wait_dscnt 0x0
	s_barrier_signal -1
	s_barrier_wait -1
	s_and_saveexec_b32 s2, s5
	s_cbranch_execz .LBB63_67
; %bb.64:
	ds_load_b32 v2, v12
	s_mov_b32 s3, exec_lo
	s_wait_dscnt 0x0
	v_cmpx_eq_u32_e64 v6, v2
	s_cbranch_execz .LBB63_66
; %bb.65:
	v_subrev_nc_u32_e32 v2, 32, v8
	ds_load_b32 v2, v2
	s_wait_dscnt 0x0
	v_add_f32_e32 v7, v7, v2
.LBB63_66:
	s_or_b32 exec_lo, exec_lo, s3
.LBB63_67:
	s_delay_alu instid0(SALU_CYCLE_1)
	s_or_b32 exec_lo, exec_lo, s2
	s_barrier_signal -1
	s_barrier_wait -1
	ds_store_b32 v8, v7
	s_wait_dscnt 0x0
	s_barrier_signal -1
	s_barrier_wait -1
	s_and_saveexec_b32 s2, s6
	s_cbranch_execz .LBB63_71
; %bb.68:
	ds_load_b32 v2, v13
	s_mov_b32 s3, exec_lo
	s_wait_dscnt 0x0
	v_cmpx_eq_u32_e64 v6, v2
	s_cbranch_execz .LBB63_70
; %bb.69:
	v_subrev_nc_u32_e32 v2, 64, v8
	ds_load_b32 v2, v2
	s_wait_dscnt 0x0
	v_add_f32_e32 v7, v7, v2
.LBB63_70:
	s_or_b32 exec_lo, exec_lo, s3
.LBB63_71:
	s_delay_alu instid0(SALU_CYCLE_1)
	s_or_b32 exec_lo, exec_lo, s2
	s_barrier_signal -1
	s_barrier_wait -1
	ds_store_b32 v8, v7
	s_wait_dscnt 0x0
	s_barrier_signal -1
	s_barrier_wait -1
	s_and_saveexec_b32 s2, s7
	s_cbranch_execz .LBB63_75
; %bb.72:
	ds_load_b32 v2, v14
	s_mov_b32 s3, exec_lo
	s_wait_dscnt 0x0
	v_cmpx_eq_u32_e64 v6, v2
	s_cbranch_execz .LBB63_74
; %bb.73:
	v_add_nc_u32_e32 v2, 0xffffff80, v8
	ds_load_b32 v2, v2
	s_wait_dscnt 0x0
	v_add_f32_e32 v7, v7, v2
.LBB63_74:
	s_or_b32 exec_lo, exec_lo, s3
.LBB63_75:
	s_delay_alu instid0(SALU_CYCLE_1)
	s_or_b32 exec_lo, exec_lo, s2
	s_barrier_signal -1
	s_barrier_wait -1
	ds_store_b32 v8, v7
	s_wait_dscnt 0x0
	s_barrier_signal -1
	s_barrier_wait -1
	s_and_saveexec_b32 s2, s8
	s_cbranch_execz .LBB63_79
; %bb.76:
	ds_load_b32 v2, v15
	s_mov_b32 s3, exec_lo
	s_wait_dscnt 0x0
	v_cmpx_eq_u32_e64 v6, v2
	s_cbranch_execz .LBB63_78
; %bb.77:
	v_add_nc_u32_e32 v2, 0xffffff00, v8
	ds_load_b32 v2, v2
	s_wait_dscnt 0x0
	v_add_f32_e32 v7, v7, v2
.LBB63_78:
	s_or_b32 exec_lo, exec_lo, s3
.LBB63_79:
	;; [unrolled: 24-line block ×3, first 2 shown]
	s_delay_alu instid0(SALU_CYCLE_1)
	s_or_b32 exec_lo, exec_lo, s2
	s_barrier_signal -1
	s_barrier_wait -1
	ds_store_b32 v8, v7
	s_wait_dscnt 0x0
	s_barrier_signal -1
	s_barrier_wait -1
	s_and_saveexec_b32 s2, s1
	s_cbranch_execz .LBB63_86
; %bb.84:
	ds_load_b32 v1, v1 offset:4
	v_cmp_lt_i32_e64 s0, -1, v6
	s_wait_dscnt 0x0
	v_cmp_ne_u32_e32 vcc_lo, v6, v1
	s_and_b32 s0, s0, vcc_lo
	s_delay_alu instid0(SALU_CYCLE_1)
	s_and_b32 exec_lo, exec_lo, s0
	s_cbranch_execz .LBB63_86
; %bb.85:
	v_mul_f32_e32 v1, s22, v7
	s_wait_kmcnt 0x0
	global_atomic_add_f32 v6, v1, s[16:17] scale_offset scope:SCOPE_DEV
.LBB63_86:
	s_wait_xcnt 0x0
	s_or_b32 exec_lo, exec_lo, s2
	v_cmp_eq_u32_e32 vcc_lo, 0xff, v0
	v_cmp_lt_i32_e64 s0, -1, v6
	s_and_b32 s0, vcc_lo, s0
	s_delay_alu instid0(SALU_CYCLE_1)
	s_and_saveexec_b32 s1, s0
	s_cbranch_execz .LBB63_88
; %bb.87:
	v_mul_f32_e32 v0, s22, v7
	s_wait_kmcnt 0x0
	global_atomic_add_f32 v6, v0, s[16:17] scale_offset scope:SCOPE_DEV
.LBB63_88:
	s_endpgm
	.section	.rodata,"a",@progbits
	.p2align	6, 0x0
	.amdhsa_kernel _ZN9rocsparseL19coomvn_atomic_loopsILj256ELj2EiDF16_DF16_ffEEvlNS_24const_host_device_scalarIT5_EEPKT1_S6_PKT2_PKT3_PT4_21rocsparse_index_base_b
		.amdhsa_group_segment_fixed_size 2048
		.amdhsa_private_segment_fixed_size 0
		.amdhsa_kernarg_size 64
		.amdhsa_user_sgpr_count 2
		.amdhsa_user_sgpr_dispatch_ptr 0
		.amdhsa_user_sgpr_queue_ptr 0
		.amdhsa_user_sgpr_kernarg_segment_ptr 1
		.amdhsa_user_sgpr_dispatch_id 0
		.amdhsa_user_sgpr_kernarg_preload_length 0
		.amdhsa_user_sgpr_kernarg_preload_offset 0
		.amdhsa_user_sgpr_private_segment_size 0
		.amdhsa_wavefront_size32 1
		.amdhsa_uses_dynamic_stack 0
		.amdhsa_enable_private_segment 0
		.amdhsa_system_sgpr_workgroup_id_x 1
		.amdhsa_system_sgpr_workgroup_id_y 0
		.amdhsa_system_sgpr_workgroup_id_z 0
		.amdhsa_system_sgpr_workgroup_info 0
		.amdhsa_system_vgpr_workitem_id 0
		.amdhsa_next_free_vgpr 20
		.amdhsa_next_free_sgpr 26
		.amdhsa_named_barrier_count 0
		.amdhsa_reserve_vcc 1
		.amdhsa_float_round_mode_32 0
		.amdhsa_float_round_mode_16_64 0
		.amdhsa_float_denorm_mode_32 3
		.amdhsa_float_denorm_mode_16_64 3
		.amdhsa_fp16_overflow 0
		.amdhsa_memory_ordered 1
		.amdhsa_forward_progress 1
		.amdhsa_inst_pref_size 21
		.amdhsa_round_robin_scheduling 0
		.amdhsa_exception_fp_ieee_invalid_op 0
		.amdhsa_exception_fp_denorm_src 0
		.amdhsa_exception_fp_ieee_div_zero 0
		.amdhsa_exception_fp_ieee_overflow 0
		.amdhsa_exception_fp_ieee_underflow 0
		.amdhsa_exception_fp_ieee_inexact 0
		.amdhsa_exception_int_div_zero 0
	.end_amdhsa_kernel
	.section	.text._ZN9rocsparseL19coomvn_atomic_loopsILj256ELj2EiDF16_DF16_ffEEvlNS_24const_host_device_scalarIT5_EEPKT1_S6_PKT2_PKT3_PT4_21rocsparse_index_base_b,"axG",@progbits,_ZN9rocsparseL19coomvn_atomic_loopsILj256ELj2EiDF16_DF16_ffEEvlNS_24const_host_device_scalarIT5_EEPKT1_S6_PKT2_PKT3_PT4_21rocsparse_index_base_b,comdat
.Lfunc_end63:
	.size	_ZN9rocsparseL19coomvn_atomic_loopsILj256ELj2EiDF16_DF16_ffEEvlNS_24const_host_device_scalarIT5_EEPKT1_S6_PKT2_PKT3_PT4_21rocsparse_index_base_b, .Lfunc_end63-_ZN9rocsparseL19coomvn_atomic_loopsILj256ELj2EiDF16_DF16_ffEEvlNS_24const_host_device_scalarIT5_EEPKT1_S6_PKT2_PKT3_PT4_21rocsparse_index_base_b
                                        ; -- End function
	.set _ZN9rocsparseL19coomvn_atomic_loopsILj256ELj2EiDF16_DF16_ffEEvlNS_24const_host_device_scalarIT5_EEPKT1_S6_PKT2_PKT3_PT4_21rocsparse_index_base_b.num_vgpr, 20
	.set _ZN9rocsparseL19coomvn_atomic_loopsILj256ELj2EiDF16_DF16_ffEEvlNS_24const_host_device_scalarIT5_EEPKT1_S6_PKT2_PKT3_PT4_21rocsparse_index_base_b.num_agpr, 0
	.set _ZN9rocsparseL19coomvn_atomic_loopsILj256ELj2EiDF16_DF16_ffEEvlNS_24const_host_device_scalarIT5_EEPKT1_S6_PKT2_PKT3_PT4_21rocsparse_index_base_b.numbered_sgpr, 26
	.set _ZN9rocsparseL19coomvn_atomic_loopsILj256ELj2EiDF16_DF16_ffEEvlNS_24const_host_device_scalarIT5_EEPKT1_S6_PKT2_PKT3_PT4_21rocsparse_index_base_b.num_named_barrier, 0
	.set _ZN9rocsparseL19coomvn_atomic_loopsILj256ELj2EiDF16_DF16_ffEEvlNS_24const_host_device_scalarIT5_EEPKT1_S6_PKT2_PKT3_PT4_21rocsparse_index_base_b.private_seg_size, 0
	.set _ZN9rocsparseL19coomvn_atomic_loopsILj256ELj2EiDF16_DF16_ffEEvlNS_24const_host_device_scalarIT5_EEPKT1_S6_PKT2_PKT3_PT4_21rocsparse_index_base_b.uses_vcc, 1
	.set _ZN9rocsparseL19coomvn_atomic_loopsILj256ELj2EiDF16_DF16_ffEEvlNS_24const_host_device_scalarIT5_EEPKT1_S6_PKT2_PKT3_PT4_21rocsparse_index_base_b.uses_flat_scratch, 0
	.set _ZN9rocsparseL19coomvn_atomic_loopsILj256ELj2EiDF16_DF16_ffEEvlNS_24const_host_device_scalarIT5_EEPKT1_S6_PKT2_PKT3_PT4_21rocsparse_index_base_b.has_dyn_sized_stack, 0
	.set _ZN9rocsparseL19coomvn_atomic_loopsILj256ELj2EiDF16_DF16_ffEEvlNS_24const_host_device_scalarIT5_EEPKT1_S6_PKT2_PKT3_PT4_21rocsparse_index_base_b.has_recursion, 0
	.set _ZN9rocsparseL19coomvn_atomic_loopsILj256ELj2EiDF16_DF16_ffEEvlNS_24const_host_device_scalarIT5_EEPKT1_S6_PKT2_PKT3_PT4_21rocsparse_index_base_b.has_indirect_call, 0
	.section	.AMDGPU.csdata,"",@progbits
; Kernel info:
; codeLenInByte = 2600
; TotalNumSgprs: 28
; NumVgprs: 20
; ScratchSize: 0
; MemoryBound: 0
; FloatMode: 240
; IeeeMode: 1
; LDSByteSize: 2048 bytes/workgroup (compile time only)
; SGPRBlocks: 0
; VGPRBlocks: 1
; NumSGPRsForWavesPerEU: 28
; NumVGPRsForWavesPerEU: 20
; NamedBarCnt: 0
; Occupancy: 16
; WaveLimiterHint : 1
; COMPUTE_PGM_RSRC2:SCRATCH_EN: 0
; COMPUTE_PGM_RSRC2:USER_SGPR: 2
; COMPUTE_PGM_RSRC2:TRAP_HANDLER: 0
; COMPUTE_PGM_RSRC2:TGID_X_EN: 1
; COMPUTE_PGM_RSRC2:TGID_Y_EN: 0
; COMPUTE_PGM_RSRC2:TGID_Z_EN: 0
; COMPUTE_PGM_RSRC2:TIDIG_COMP_CNT: 0
	.section	.text._ZN9rocsparseL22coomvn_segmented_loopsILj256ElDF16_DF16_ffEEvlT0_NS_24const_host_device_scalarIT4_EEPKS1_S6_PKT1_PKT2_PT3_PS1_PS3_21rocsparse_index_base_b,"axG",@progbits,_ZN9rocsparseL22coomvn_segmented_loopsILj256ElDF16_DF16_ffEEvlT0_NS_24const_host_device_scalarIT4_EEPKS1_S6_PKT1_PKT2_PT3_PS1_PS3_21rocsparse_index_base_b,comdat
	.globl	_ZN9rocsparseL22coomvn_segmented_loopsILj256ElDF16_DF16_ffEEvlT0_NS_24const_host_device_scalarIT4_EEPKS1_S6_PKT1_PKT2_PT3_PS1_PS3_21rocsparse_index_base_b ; -- Begin function _ZN9rocsparseL22coomvn_segmented_loopsILj256ElDF16_DF16_ffEEvlT0_NS_24const_host_device_scalarIT4_EEPKS1_S6_PKT1_PKT2_PT3_PS1_PS3_21rocsparse_index_base_b
	.p2align	8
	.type	_ZN9rocsparseL22coomvn_segmented_loopsILj256ElDF16_DF16_ffEEvlT0_NS_24const_host_device_scalarIT4_EEPKS1_S6_PKT1_PKT2_PT3_PS1_PS3_21rocsparse_index_base_b,@function
_ZN9rocsparseL22coomvn_segmented_loopsILj256ElDF16_DF16_ffEEvlT0_NS_24const_host_device_scalarIT4_EEPKS1_S6_PKT1_PKT2_PT3_PS1_PS3_21rocsparse_index_base_b: ; @_ZN9rocsparseL22coomvn_segmented_loopsILj256ElDF16_DF16_ffEEvlT0_NS_24const_host_device_scalarIT4_EEPKS1_S6_PKT1_PKT2_PT3_PS1_PS3_21rocsparse_index_base_b
; %bb.0:
	s_clause 0x1
	s_load_b64 s[30:31], s[0:1], 0x50
	s_load_b64 s[14:15], s[0:1], 0x10
	s_wait_kmcnt 0x0
	s_bitcmp1_b32 s31, 0
	s_cselect_b32 s2, -1, 0
	s_delay_alu instid0(SALU_CYCLE_1)
	s_and_b32 vcc_lo, exec_lo, s2
	s_cbranch_vccnz .LBB64_2
; %bb.1:
	s_load_b32 s14, s[14:15], 0x0
.LBB64_2:
	s_wait_kmcnt 0x0
	s_cmp_eq_f32 s14, 0
	s_mov_b32 s29, 0
	s_cbranch_scc1 .LBB64_89
; %bb.3:
	s_load_b128 s[24:27], s[0:1], 0x0
	s_bfe_u32 s2, ttmp6, 0x4000c
	s_load_b256 s[16:23], s[0:1], 0x18
	s_add_co_i32 s2, s2, 1
	s_and_b32 s3, ttmp6, 15
	s_mul_i32 s2, ttmp9, s2
	s_getreg_b32 s4, hwreg(HW_REG_IB_STS2, 6, 4)
	s_add_co_i32 s3, s3, s2
	s_cmp_eq_u32 s4, 0
	v_mov_b64_e32 v[2:3], -1
	s_cselect_b32 s28, ttmp9, s3
	v_mov_b32_e32 v6, 0
	s_wait_kmcnt 0x0
	s_mul_u64 s[36:37], s[28:29], s[26:27]
	s_delay_alu instid0(SALU_CYCLE_1) | instskip(NEXT) | instid1(SALU_CYCLE_1)
	s_lshl_b64 s[2:3], s[36:37], 8
	v_dual_mov_b32 v5, s3 :: v_dual_bitop2_b32 v4, s2, v0 bitop3:0x54
	s_mov_b32 s2, exec_lo
	s_delay_alu instid0(VALU_DEP_1)
	v_cmpx_gt_i64_e64 s[24:25], v[4:5]
	s_cbranch_execz .LBB64_5
; %bb.4:
	v_lshlrev_b64_e32 v[2:3], 3, v[4:5]
	s_mov_b32 s31, 0
	s_delay_alu instid0(VALU_DEP_1)
	v_add_nc_u64_e32 v[6:7], s[16:17], v[2:3]
	v_add_nc_u64_e32 v[2:3], s[18:19], v[2:3]
	global_load_b64 v[8:9], v[6:7], off th:TH_LOAD_NT
	global_load_b64 v[10:11], v[2:3], off th:TH_LOAD_NT
	s_wait_loadcnt 0x1
	s_wait_xcnt 0x0
	v_sub_nc_u64_e64 v[2:3], v[8:9], s[30:31]
	s_wait_loadcnt 0x0
	v_lshl_add_u64 v[6:7], v[10:11], 1, s[22:23]
	s_ashr_i32 s31, s30, 31
	v_lshl_add_u64 v[8:9], v[4:5], 1, s[20:21]
	s_lshl_b64 s[4:5], s[30:31], 1
	s_delay_alu instid0(VALU_DEP_2) | instid1(SALU_CYCLE_1)
	v_sub_nc_u64_e64 v[6:7], v[6:7], s[4:5]
	global_load_u16 v1, v[8:9], off
	global_load_u16 v10, v[6:7], off
	s_wait_loadcnt 0x1
	v_cvt_f32_f16_e32 v1, v1
	s_wait_loadcnt 0x0
	v_cvt_f32_f16_e32 v6, v10
	s_delay_alu instid0(VALU_DEP_1)
	v_mul_f32_e32 v6, v1, v6
.LBB64_5:
	s_or_b32 exec_lo, exec_lo, s2
	v_dual_lshlrev_b32 v7, 2, v0 :: v_dual_lshlrev_b32 v1, 3, v0
	v_cmp_eq_u32_e64 s2, 0, v0
	v_cmp_ne_u32_e64 s3, 0, v0
	ds_store_b64 v1, v[2:3]
	ds_store_b32 v7, v6 offset:2048
	v_or_b32_e32 v16, 0x800, v7
	v_add_nc_u32_e32 v17, -8, v1
	s_wait_dscnt 0x0
	s_barrier_signal -1
	s_barrier_wait -1
	s_and_saveexec_b32 s4, s3
	s_cbranch_execz .LBB64_9
; %bb.6:
	ds_load_b64 v[8:9], v17
	s_mov_b32 s5, exec_lo
	s_wait_dscnt 0x0
	v_cmpx_eq_u64_e64 v[2:3], v[8:9]
	s_cbranch_execz .LBB64_8
; %bb.7:
	v_add_nc_u32_e32 v7, -4, v16
	ds_load_b32 v7, v7
	s_wait_dscnt 0x0
	v_add_f32_e32 v6, v6, v7
.LBB64_8:
	s_or_b32 exec_lo, exec_lo, s5
.LBB64_9:
	s_delay_alu instid0(SALU_CYCLE_1)
	s_or_b32 exec_lo, exec_lo, s4
	v_cmp_lt_u32_e64 s4, 1, v0
	v_add_nc_u32_e32 v18, -16, v1
	s_barrier_signal -1
	s_barrier_wait -1
	ds_store_b32 v16, v6
	s_wait_dscnt 0x0
	s_barrier_signal -1
	s_barrier_wait -1
	s_and_saveexec_b32 s5, s4
	s_cbranch_execz .LBB64_13
; %bb.10:
	ds_load_b64 v[8:9], v18
	s_mov_b32 s6, exec_lo
	s_wait_dscnt 0x0
	v_cmpx_eq_u64_e64 v[2:3], v[8:9]
	s_cbranch_execz .LBB64_12
; %bb.11:
	v_add_nc_u32_e32 v7, -8, v16
	ds_load_b32 v7, v7
	s_wait_dscnt 0x0
	v_add_f32_e32 v6, v6, v7
.LBB64_12:
	s_or_b32 exec_lo, exec_lo, s6
.LBB64_13:
	s_delay_alu instid0(SALU_CYCLE_1)
	s_or_b32 exec_lo, exec_lo, s5
	v_cmp_lt_u32_e64 s5, 3, v0
	v_subrev_nc_u32_e32 v19, 32, v1
	s_barrier_signal -1
	s_barrier_wait -1
	ds_store_b32 v16, v6
	s_wait_dscnt 0x0
	s_barrier_signal -1
	s_barrier_wait -1
	s_and_saveexec_b32 s6, s5
	s_cbranch_execz .LBB64_17
; %bb.14:
	ds_load_b64 v[8:9], v19
	s_mov_b32 s7, exec_lo
	s_wait_dscnt 0x0
	v_cmpx_eq_u64_e64 v[2:3], v[8:9]
	s_cbranch_execz .LBB64_16
; %bb.15:
	v_add_nc_u32_e32 v7, -16, v16
	ds_load_b32 v7, v7
	s_wait_dscnt 0x0
	v_add_f32_e32 v6, v6, v7
.LBB64_16:
	s_or_b32 exec_lo, exec_lo, s7
.LBB64_17:
	s_delay_alu instid0(SALU_CYCLE_1)
	s_or_b32 exec_lo, exec_lo, s6
	v_cmp_lt_u32_e64 s6, 7, v0
	v_subrev_nc_u32_e32 v20, 64, v1
	s_barrier_signal -1
	s_barrier_wait -1
	ds_store_b32 v16, v6
	s_wait_dscnt 0x0
	s_barrier_signal -1
	s_barrier_wait -1
	s_and_saveexec_b32 s7, s6
	s_cbranch_execz .LBB64_21
; %bb.18:
	ds_load_b64 v[8:9], v20
	s_mov_b32 s8, exec_lo
	s_wait_dscnt 0x0
	v_cmpx_eq_u64_e64 v[2:3], v[8:9]
	s_cbranch_execz .LBB64_20
; %bb.19:
	v_subrev_nc_u32_e32 v7, 32, v16
	ds_load_b32 v7, v7
	s_wait_dscnt 0x0
	v_add_f32_e32 v6, v6, v7
.LBB64_20:
	s_or_b32 exec_lo, exec_lo, s8
.LBB64_21:
	s_delay_alu instid0(SALU_CYCLE_1)
	s_or_b32 exec_lo, exec_lo, s7
	v_cmp_lt_u32_e64 s7, 15, v0
	v_add_nc_u32_e32 v21, 0xffffff80, v1
	s_barrier_signal -1
	s_barrier_wait -1
	ds_store_b32 v16, v6
	s_wait_dscnt 0x0
	s_barrier_signal -1
	s_barrier_wait -1
	s_and_saveexec_b32 s8, s7
	s_cbranch_execz .LBB64_25
; %bb.22:
	ds_load_b64 v[8:9], v21
	s_mov_b32 s9, exec_lo
	s_wait_dscnt 0x0
	v_cmpx_eq_u64_e64 v[2:3], v[8:9]
	s_cbranch_execz .LBB64_24
; %bb.23:
	v_subrev_nc_u32_e32 v7, 64, v16
	ds_load_b32 v7, v7
	s_wait_dscnt 0x0
	v_add_f32_e32 v6, v6, v7
.LBB64_24:
	s_or_b32 exec_lo, exec_lo, s9
.LBB64_25:
	s_delay_alu instid0(SALU_CYCLE_1)
	s_or_b32 exec_lo, exec_lo, s8
	v_cmp_lt_u32_e64 s8, 31, v0
	v_add_nc_u32_e32 v22, 0xffffff00, v1
	s_barrier_signal -1
	s_barrier_wait -1
	ds_store_b32 v16, v6
	s_wait_dscnt 0x0
	s_barrier_signal -1
	s_barrier_wait -1
	s_and_saveexec_b32 s9, s8
	s_cbranch_execz .LBB64_29
; %bb.26:
	ds_load_b64 v[8:9], v22
	s_mov_b32 s10, exec_lo
	s_wait_dscnt 0x0
	v_cmpx_eq_u64_e64 v[2:3], v[8:9]
	s_cbranch_execz .LBB64_28
; %bb.27:
	v_add_nc_u32_e32 v7, 0xffffff80, v16
	ds_load_b32 v7, v7
	s_wait_dscnt 0x0
	v_add_f32_e32 v6, v6, v7
.LBB64_28:
	s_or_b32 exec_lo, exec_lo, s10
.LBB64_29:
	s_delay_alu instid0(SALU_CYCLE_1)
	s_or_b32 exec_lo, exec_lo, s9
	v_cmp_lt_u32_e64 s9, 63, v0
	v_add_nc_u32_e32 v23, 0xfffffe00, v1
	s_barrier_signal -1
	s_barrier_wait -1
	ds_store_b32 v16, v6
	s_wait_dscnt 0x0
	s_barrier_signal -1
	s_barrier_wait -1
	s_and_saveexec_b32 s10, s9
	s_cbranch_execz .LBB64_33
; %bb.30:
	ds_load_b64 v[8:9], v23
	s_mov_b32 s11, exec_lo
	s_wait_dscnt 0x0
	v_cmpx_eq_u64_e64 v[2:3], v[8:9]
	s_cbranch_execz .LBB64_32
; %bb.31:
	v_add_nc_u32_e32 v7, 0xffffff00, v16
	ds_load_b32 v7, v7
	s_wait_dscnt 0x0
	v_add_f32_e32 v6, v6, v7
.LBB64_32:
	s_or_b32 exec_lo, exec_lo, s11
.LBB64_33:
	;; [unrolled: 26-line block ×3, first 2 shown]
	s_delay_alu instid0(SALU_CYCLE_1)
	s_or_b32 exec_lo, exec_lo, s11
	s_load_b64 s[34:35], s[0:1], 0x38
	v_cmp_gt_u32_e64 s11, 0xff, v0
	s_barrier_signal -1
	s_barrier_wait -1
	ds_store_b32 v16, v6
	s_wait_dscnt 0x0
	s_barrier_signal -1
	s_barrier_wait -1
	s_and_saveexec_b32 s13, s11
	s_cbranch_execz .LBB64_40
; %bb.38:
	ds_load_b64 v[8:9], v1 offset:8
	v_cmp_lt_i64_e64 s12, -1, v[2:3]
	s_wait_dscnt 0x0
	v_cmp_ne_u64_e32 vcc_lo, v[2:3], v[8:9]
	s_and_b32 s12, s12, vcc_lo
	s_delay_alu instid0(SALU_CYCLE_1)
	s_and_b32 exec_lo, exec_lo, s12
	s_cbranch_execz .LBB64_40
; %bb.39:
	s_wait_kmcnt 0x0
	v_lshl_add_u64 v[8:9], v[2:3], 2, s[34:35]
	global_load_b32 v7, v[8:9], off
	s_wait_loadcnt 0x0
	v_fmac_f32_e32 v7, s14, v6
	global_store_b32 v[8:9], v7, off
.LBB64_40:
	s_wait_xcnt 0x0
	s_or_b32 exec_lo, exec_lo, s13
	v_cmp_lt_i64_e64 s12, s[26:27], 2
	s_and_b32 vcc_lo, exec_lo, s12
	s_cbranch_vccnz .LBB64_87
; %bb.41:
	s_lshl_b64 s[38:39], s[36:37], 11
	v_dual_mov_b32 v7, 0 :: v_dual_add_nc_u32 v25, -4, v16
	v_lshl_or_b32 v2, v0, 3, s38
	v_dual_mov_b32 v3, s39 :: v_dual_lshlrev_b32 v6, 1, v0
	s_lshl_b64 s[36:37], s[36:37], 9
	v_add_nc_u64_e32 v[4:5], 0x100, v[4:5]
	s_add_nc_u64 s[20:21], s[20:21], s[36:37]
	s_delay_alu instid0(VALU_DEP_2)
	v_add_nc_u64_e32 v[2:3], 0x800, v[2:3]
	v_add_nc_u64_e32 v[10:11], s[20:21], v[6:7]
	s_ashr_i32 s13, s30, 31
	s_mov_b32 s12, s30
	v_dual_add_nc_u32 v26, -8, v16 :: v_dual_add_nc_u32 v27, -16, v16
	v_subrev_nc_u32_e32 v28, 32, v16
	s_delay_alu instid0(VALU_DEP_4) | instskip(NEXT) | instid1(VALU_DEP_4)
	v_add_nc_u64_e32 v[8:9], s[18:19], v[2:3]
	v_add_nc_u64_e32 v[10:11], 0x200, v[10:11]
	;; [unrolled: 1-line block ×3, first 2 shown]
	v_subrev_nc_u32_e32 v29, 64, v16
	v_add_nc_u32_e32 v30, 0xffffff80, v16
	v_add_nc_u32_e32 v31, 0xffffff00, v16
	;; [unrolled: 1-line block ×3, first 2 shown]
	s_lshl_b64 s[12:13], s[12:13], 1
	s_add_nc_u64 s[26:27], s[26:27], -1
	s_mov_b32 s31, 0
	s_sub_nc_u64 s[16:17], s[22:23], s[12:13]
	s_mov_b64 s[18:19], 0
	s_branch .LBB64_43
.LBB64_42:                              ;   in Loop: Header=BB64_43 Depth=1
	s_wait_xcnt 0x0
	s_or_b32 exec_lo, exec_lo, s13
	s_add_nc_u64 s[18:19], s[18:19], 1
	v_add_nc_u64_e32 v[8:9], 0x800, v[8:9]
	v_cmp_le_u64_e64 s12, s[26:27], s[18:19]
	v_add_nc_u64_e32 v[10:11], 0x200, v[10:11]
	v_add_nc_u64_e32 v[12:13], 0x800, v[12:13]
	;; [unrolled: 1-line block ×3, first 2 shown]
	s_and_b32 vcc_lo, exec_lo, s12
	s_cbranch_vccnz .LBB64_87
.LBB64_43:                              ; =>This Inner Loop Header: Depth=1
	v_mov_b64_e32 v[2:3], -1
	v_mov_b32_e32 v6, 0
	s_mov_b32 s12, exec_lo
	s_delay_alu instid0(VALU_DEP_3)
	v_cmpx_gt_i64_e64 s[24:25], v[4:5]
	s_cbranch_execz .LBB64_45
; %bb.44:                               ;   in Loop: Header=BB64_43 Depth=1
	global_load_b64 v[2:3], v[8:9], off th:TH_LOAD_NT
	s_wait_loadcnt 0x0
	v_lshl_add_u64 v[2:3], v[2:3], 1, s[16:17]
	global_load_u16 v6, v[10:11], off
	global_load_u16 v33, v[2:3], off
	global_load_b64 v[14:15], v[12:13], off th:TH_LOAD_NT
	s_wait_loadcnt 0x2
	v_cvt_f32_f16_e32 v6, v6
	s_wait_loadcnt 0x1
	v_cvt_f32_f16_e32 v33, v33
	s_wait_loadcnt 0x0
	s_wait_xcnt 0x1
	v_sub_nc_u64_e64 v[2:3], v[14:15], s[30:31]
	s_delay_alu instid0(VALU_DEP_2)
	v_mul_f32_e32 v6, v6, v33
.LBB64_45:                              ;   in Loop: Header=BB64_43 Depth=1
	s_wait_xcnt 0x0
	s_or_b32 exec_lo, exec_lo, s12
	s_and_saveexec_b32 s12, s2
	s_cbranch_execz .LBB64_52
; %bb.46:                               ;   in Loop: Header=BB64_43 Depth=1
	ds_load_b64 v[14:15], v7 offset:2040
	s_mov_b32 s13, exec_lo
	s_wait_dscnt 0x0
	v_cmpx_ne_u64_e64 v[2:3], v[14:15]
	s_xor_b32 s13, exec_lo, s13
	s_cbranch_execz .LBB64_49
; %bb.47:                               ;   in Loop: Header=BB64_43 Depth=1
	v_cmp_gt_i64_e32 vcc_lo, 0, v[14:15]
	s_cbranch_vccnz .LBB64_49
; %bb.48:                               ;   in Loop: Header=BB64_43 Depth=1
	v_lshlrev_b64_e32 v[14:15], 2, v[14:15]
	ds_load_b32 v34, v7 offset:3068
	s_wait_kmcnt 0x0
	v_add_nc_u64_e32 v[14:15], s[34:35], v[14:15]
	global_load_b32 v33, v[14:15], off
	s_wait_loadcnt_dscnt 0x0
	v_fmac_f32_e32 v33, s14, v34
	global_store_b32 v[14:15], v33, off
.LBB64_49:                              ;   in Loop: Header=BB64_43 Depth=1
	s_wait_xcnt 0x0
	s_and_not1_saveexec_b32 s13, s13
	s_cbranch_execz .LBB64_51
; %bb.50:                               ;   in Loop: Header=BB64_43 Depth=1
	ds_load_b32 v14, v7 offset:3068
	s_wait_dscnt 0x0
	v_add_f32_e32 v6, v6, v14
.LBB64_51:                              ;   in Loop: Header=BB64_43 Depth=1
	s_or_b32 exec_lo, exec_lo, s13
.LBB64_52:                              ;   in Loop: Header=BB64_43 Depth=1
	s_delay_alu instid0(SALU_CYCLE_1)
	s_or_b32 exec_lo, exec_lo, s12
	s_wait_storecnt 0x0
	s_barrier_signal -1
	s_barrier_wait -1
	ds_store_b64 v1, v[2:3]
	ds_store_b32 v16, v6
	s_wait_dscnt 0x0
	s_barrier_signal -1
	s_barrier_wait -1
	s_and_saveexec_b32 s12, s3
	s_cbranch_execz .LBB64_56
; %bb.53:                               ;   in Loop: Header=BB64_43 Depth=1
	ds_load_b64 v[14:15], v17
	s_mov_b32 s13, exec_lo
	s_wait_dscnt 0x0
	v_cmpx_eq_u64_e64 v[2:3], v[14:15]
	s_cbranch_execz .LBB64_55
; %bb.54:                               ;   in Loop: Header=BB64_43 Depth=1
	ds_load_b32 v14, v25
	s_wait_dscnt 0x0
	v_add_f32_e32 v6, v6, v14
.LBB64_55:                              ;   in Loop: Header=BB64_43 Depth=1
	s_or_b32 exec_lo, exec_lo, s13
.LBB64_56:                              ;   in Loop: Header=BB64_43 Depth=1
	s_delay_alu instid0(SALU_CYCLE_1)
	s_or_b32 exec_lo, exec_lo, s12
	s_barrier_signal -1
	s_barrier_wait -1
	ds_store_b32 v16, v6
	s_wait_dscnt 0x0
	s_barrier_signal -1
	s_barrier_wait -1
	s_and_saveexec_b32 s12, s4
	s_cbranch_execz .LBB64_60
; %bb.57:                               ;   in Loop: Header=BB64_43 Depth=1
	ds_load_b64 v[14:15], v18
	s_mov_b32 s13, exec_lo
	s_wait_dscnt 0x0
	v_cmpx_eq_u64_e64 v[2:3], v[14:15]
	s_cbranch_execz .LBB64_59
; %bb.58:                               ;   in Loop: Header=BB64_43 Depth=1
	ds_load_b32 v14, v26
	s_wait_dscnt 0x0
	v_add_f32_e32 v6, v6, v14
.LBB64_59:                              ;   in Loop: Header=BB64_43 Depth=1
	s_or_b32 exec_lo, exec_lo, s13
.LBB64_60:                              ;   in Loop: Header=BB64_43 Depth=1
	s_delay_alu instid0(SALU_CYCLE_1)
	s_or_b32 exec_lo, exec_lo, s12
	s_barrier_signal -1
	s_barrier_wait -1
	;; [unrolled: 23-line block ×8, first 2 shown]
	ds_store_b32 v16, v6
	s_wait_dscnt 0x0
	s_barrier_signal -1
	s_barrier_wait -1
	s_and_saveexec_b32 s13, s11
	s_cbranch_execz .LBB64_42
; %bb.85:                               ;   in Loop: Header=BB64_43 Depth=1
	ds_load_b64 v[14:15], v1 offset:8
	v_cmp_lt_i64_e64 s12, -1, v[2:3]
	s_wait_dscnt 0x0
	v_cmp_ne_u64_e32 vcc_lo, v[2:3], v[14:15]
	s_and_b32 s12, s12, vcc_lo
	s_delay_alu instid0(SALU_CYCLE_1)
	s_and_b32 exec_lo, exec_lo, s12
	s_cbranch_execz .LBB64_42
; %bb.86:                               ;   in Loop: Header=BB64_43 Depth=1
	s_wait_kmcnt 0x0
	v_lshl_add_u64 v[14:15], v[2:3], 2, s[34:35]
	global_load_b32 v33, v[14:15], off
	s_wait_loadcnt 0x0
	v_fmac_f32_e32 v33, s14, v6
	global_store_b32 v[14:15], v33, off
	s_branch .LBB64_42
.LBB64_87:
	s_load_b128 s[4:7], s[0:1], 0x40
	s_wait_xcnt 0x0
	s_mov_b32 s0, exec_lo
	v_cmpx_eq_u32_e32 0xff, v0
	s_cbranch_execz .LBB64_89
; %bb.88:
	v_dual_mov_b32 v0, 0 :: v_dual_mul_f32 v1, s14, v6
	s_lshl_b64 s[0:1], s[28:29], 3
	s_lshl_b64 s[2:3], s[28:29], 2
	s_wait_kmcnt 0x0
	s_add_nc_u64 s[0:1], s[4:5], s[0:1]
	s_add_nc_u64 s[2:3], s[6:7], s[2:3]
	s_clause 0x1
	global_store_b64 v0, v[2:3], s[0:1] th:TH_STORE_NT
	global_store_b32 v0, v1, s[2:3] th:TH_STORE_NT
.LBB64_89:
	s_endpgm
	.section	.rodata,"a",@progbits
	.p2align	6, 0x0
	.amdhsa_kernel _ZN9rocsparseL22coomvn_segmented_loopsILj256ElDF16_DF16_ffEEvlT0_NS_24const_host_device_scalarIT4_EEPKS1_S6_PKT1_PKT2_PT3_PS1_PS3_21rocsparse_index_base_b
		.amdhsa_group_segment_fixed_size 3072
		.amdhsa_private_segment_fixed_size 0
		.amdhsa_kernarg_size 88
		.amdhsa_user_sgpr_count 2
		.amdhsa_user_sgpr_dispatch_ptr 0
		.amdhsa_user_sgpr_queue_ptr 0
		.amdhsa_user_sgpr_kernarg_segment_ptr 1
		.amdhsa_user_sgpr_dispatch_id 0
		.amdhsa_user_sgpr_kernarg_preload_length 0
		.amdhsa_user_sgpr_kernarg_preload_offset 0
		.amdhsa_user_sgpr_private_segment_size 0
		.amdhsa_wavefront_size32 1
		.amdhsa_uses_dynamic_stack 0
		.amdhsa_enable_private_segment 0
		.amdhsa_system_sgpr_workgroup_id_x 1
		.amdhsa_system_sgpr_workgroup_id_y 0
		.amdhsa_system_sgpr_workgroup_id_z 0
		.amdhsa_system_sgpr_workgroup_info 0
		.amdhsa_system_vgpr_workitem_id 0
		.amdhsa_next_free_vgpr 35
		.amdhsa_next_free_sgpr 40
		.amdhsa_named_barrier_count 0
		.amdhsa_reserve_vcc 1
		.amdhsa_float_round_mode_32 0
		.amdhsa_float_round_mode_16_64 0
		.amdhsa_float_denorm_mode_32 3
		.amdhsa_float_denorm_mode_16_64 3
		.amdhsa_fp16_overflow 0
		.amdhsa_memory_ordered 1
		.amdhsa_forward_progress 1
		.amdhsa_inst_pref_size 23
		.amdhsa_round_robin_scheduling 0
		.amdhsa_exception_fp_ieee_invalid_op 0
		.amdhsa_exception_fp_denorm_src 0
		.amdhsa_exception_fp_ieee_div_zero 0
		.amdhsa_exception_fp_ieee_overflow 0
		.amdhsa_exception_fp_ieee_underflow 0
		.amdhsa_exception_fp_ieee_inexact 0
		.amdhsa_exception_int_div_zero 0
	.end_amdhsa_kernel
	.section	.text._ZN9rocsparseL22coomvn_segmented_loopsILj256ElDF16_DF16_ffEEvlT0_NS_24const_host_device_scalarIT4_EEPKS1_S6_PKT1_PKT2_PT3_PS1_PS3_21rocsparse_index_base_b,"axG",@progbits,_ZN9rocsparseL22coomvn_segmented_loopsILj256ElDF16_DF16_ffEEvlT0_NS_24const_host_device_scalarIT4_EEPKS1_S6_PKT1_PKT2_PT3_PS1_PS3_21rocsparse_index_base_b,comdat
.Lfunc_end64:
	.size	_ZN9rocsparseL22coomvn_segmented_loopsILj256ElDF16_DF16_ffEEvlT0_NS_24const_host_device_scalarIT4_EEPKS1_S6_PKT1_PKT2_PT3_PS1_PS3_21rocsparse_index_base_b, .Lfunc_end64-_ZN9rocsparseL22coomvn_segmented_loopsILj256ElDF16_DF16_ffEEvlT0_NS_24const_host_device_scalarIT4_EEPKS1_S6_PKT1_PKT2_PT3_PS1_PS3_21rocsparse_index_base_b
                                        ; -- End function
	.set _ZN9rocsparseL22coomvn_segmented_loopsILj256ElDF16_DF16_ffEEvlT0_NS_24const_host_device_scalarIT4_EEPKS1_S6_PKT1_PKT2_PT3_PS1_PS3_21rocsparse_index_base_b.num_vgpr, 35
	.set _ZN9rocsparseL22coomvn_segmented_loopsILj256ElDF16_DF16_ffEEvlT0_NS_24const_host_device_scalarIT4_EEPKS1_S6_PKT1_PKT2_PT3_PS1_PS3_21rocsparse_index_base_b.num_agpr, 0
	.set _ZN9rocsparseL22coomvn_segmented_loopsILj256ElDF16_DF16_ffEEvlT0_NS_24const_host_device_scalarIT4_EEPKS1_S6_PKT1_PKT2_PT3_PS1_PS3_21rocsparse_index_base_b.numbered_sgpr, 40
	.set _ZN9rocsparseL22coomvn_segmented_loopsILj256ElDF16_DF16_ffEEvlT0_NS_24const_host_device_scalarIT4_EEPKS1_S6_PKT1_PKT2_PT3_PS1_PS3_21rocsparse_index_base_b.num_named_barrier, 0
	.set _ZN9rocsparseL22coomvn_segmented_loopsILj256ElDF16_DF16_ffEEvlT0_NS_24const_host_device_scalarIT4_EEPKS1_S6_PKT1_PKT2_PT3_PS1_PS3_21rocsparse_index_base_b.private_seg_size, 0
	.set _ZN9rocsparseL22coomvn_segmented_loopsILj256ElDF16_DF16_ffEEvlT0_NS_24const_host_device_scalarIT4_EEPKS1_S6_PKT1_PKT2_PT3_PS1_PS3_21rocsparse_index_base_b.uses_vcc, 1
	.set _ZN9rocsparseL22coomvn_segmented_loopsILj256ElDF16_DF16_ffEEvlT0_NS_24const_host_device_scalarIT4_EEPKS1_S6_PKT1_PKT2_PT3_PS1_PS3_21rocsparse_index_base_b.uses_flat_scratch, 0
	.set _ZN9rocsparseL22coomvn_segmented_loopsILj256ElDF16_DF16_ffEEvlT0_NS_24const_host_device_scalarIT4_EEPKS1_S6_PKT1_PKT2_PT3_PS1_PS3_21rocsparse_index_base_b.has_dyn_sized_stack, 0
	.set _ZN9rocsparseL22coomvn_segmented_loopsILj256ElDF16_DF16_ffEEvlT0_NS_24const_host_device_scalarIT4_EEPKS1_S6_PKT1_PKT2_PT3_PS1_PS3_21rocsparse_index_base_b.has_recursion, 0
	.set _ZN9rocsparseL22coomvn_segmented_loopsILj256ElDF16_DF16_ffEEvlT0_NS_24const_host_device_scalarIT4_EEPKS1_S6_PKT1_PKT2_PT3_PS1_PS3_21rocsparse_index_base_b.has_indirect_call, 0
	.section	.AMDGPU.csdata,"",@progbits
; Kernel info:
; codeLenInByte = 2872
; TotalNumSgprs: 42
; NumVgprs: 35
; ScratchSize: 0
; MemoryBound: 1
; FloatMode: 240
; IeeeMode: 1
; LDSByteSize: 3072 bytes/workgroup (compile time only)
; SGPRBlocks: 0
; VGPRBlocks: 2
; NumSGPRsForWavesPerEU: 42
; NumVGPRsForWavesPerEU: 35
; NamedBarCnt: 0
; Occupancy: 16
; WaveLimiterHint : 1
; COMPUTE_PGM_RSRC2:SCRATCH_EN: 0
; COMPUTE_PGM_RSRC2:USER_SGPR: 2
; COMPUTE_PGM_RSRC2:TRAP_HANDLER: 0
; COMPUTE_PGM_RSRC2:TGID_X_EN: 1
; COMPUTE_PGM_RSRC2:TGID_Y_EN: 0
; COMPUTE_PGM_RSRC2:TGID_Z_EN: 0
; COMPUTE_PGM_RSRC2:TIDIG_COMP_CNT: 0
	.section	.text._ZN9rocsparseL13coomvt_kernelILj1024ElDF16_DF16_ffEEv20rocsparse_operation_lNS_24const_host_device_scalarIT4_EEPKT0_S7_PKT1_PKT2_PT3_21rocsparse_index_base_b,"axG",@progbits,_ZN9rocsparseL13coomvt_kernelILj1024ElDF16_DF16_ffEEv20rocsparse_operation_lNS_24const_host_device_scalarIT4_EEPKT0_S7_PKT1_PKT2_PT3_21rocsparse_index_base_b,comdat
	.globl	_ZN9rocsparseL13coomvt_kernelILj1024ElDF16_DF16_ffEEv20rocsparse_operation_lNS_24const_host_device_scalarIT4_EEPKT0_S7_PKT1_PKT2_PT3_21rocsparse_index_base_b ; -- Begin function _ZN9rocsparseL13coomvt_kernelILj1024ElDF16_DF16_ffEEv20rocsparse_operation_lNS_24const_host_device_scalarIT4_EEPKT0_S7_PKT1_PKT2_PT3_21rocsparse_index_base_b
	.p2align	8
	.type	_ZN9rocsparseL13coomvt_kernelILj1024ElDF16_DF16_ffEEv20rocsparse_operation_lNS_24const_host_device_scalarIT4_EEPKT0_S7_PKT1_PKT2_PT3_21rocsparse_index_base_b,@function
_ZN9rocsparseL13coomvt_kernelILj1024ElDF16_DF16_ffEEv20rocsparse_operation_lNS_24const_host_device_scalarIT4_EEPKT0_S7_PKT1_PKT2_PT3_21rocsparse_index_base_b: ; @_ZN9rocsparseL13coomvt_kernelILj1024ElDF16_DF16_ffEEv20rocsparse_operation_lNS_24const_host_device_scalarIT4_EEPKT0_S7_PKT1_PKT2_PT3_21rocsparse_index_base_b
; %bb.0:
	s_clause 0x1
	s_load_b64 s[2:3], s[0:1], 0x40
	s_load_b128 s[4:7], s[0:1], 0x8
	s_wait_kmcnt 0x0
	s_bitcmp1_b32 s3, 0
	s_cselect_b32 s3, -1, 0
	s_delay_alu instid0(SALU_CYCLE_1)
	s_and_b32 vcc_lo, exec_lo, s3
	s_cbranch_vccnz .LBB65_2
; %bb.1:
	s_load_b32 s6, s[6:7], 0x0
.LBB65_2:
	s_wait_kmcnt 0x0
	s_cmp_eq_f32 s6, 0
	s_cbranch_scc1 .LBB65_5
; %bb.3:
	s_load_b32 s3, s[0:1], 0x54
	s_bfe_u32 s7, ttmp6, 0x4000c
	s_and_b32 s8, ttmp6, 15
	s_add_co_i32 s7, s7, 1
	s_getreg_b32 s9, hwreg(HW_REG_IB_STS2, 6, 4)
	s_mul_i32 s7, ttmp9, s7
	v_mov_b32_e32 v1, 0
	s_add_co_i32 s8, s8, s7
	s_wait_kmcnt 0x0
	s_and_b32 s3, s3, 0xffff
	s_cmp_eq_u32 s9, 0
	s_cselect_b32 s7, ttmp9, s8
	s_delay_alu instid0(SALU_CYCLE_1) | instskip(SKIP_1) | instid1(VALU_DEP_1)
	v_mad_u32 v0, s7, s3, v0
	s_mov_b32 s3, exec_lo
	v_cmpx_gt_i64_e64 s[4:5], v[0:1]
	s_cbranch_execz .LBB65_5
; %bb.4:
	s_load_b256 s[8:15], s[0:1], 0x18
	v_lshlrev_b64_e32 v[2:3], 3, v[0:1]
	s_mov_b32 s3, 0
	s_wait_xcnt 0x0
	s_load_b64 s[0:1], s[0:1], 0x38
	s_wait_kmcnt 0x0
	s_delay_alu instid0(VALU_DEP_1)
	v_add_nc_u64_e32 v[4:5], s[8:9], v[2:3]
	v_lshl_add_u64 v[0:1], v[0:1], 1, s[12:13]
	v_add_nc_u64_e32 v[2:3], s[10:11], v[2:3]
	global_load_u16 v6, v[0:1], off
	global_load_b64 v[4:5], v[4:5], off
	s_wait_loadcnt 0x0
	v_sub_nc_u64_e64 v[4:5], v[4:5], s[2:3]
	s_delay_alu instid0(VALU_DEP_1) | instskip(SKIP_4) | instid1(VALU_DEP_1)
	v_lshl_add_u64 v[0:1], v[4:5], 1, s[14:15]
	global_load_b64 v[4:5], v[2:3], off
	global_load_u16 v7, v[0:1], off
	s_wait_xcnt 0x1
	v_cvt_f32_f16_e32 v2, v6
	v_mul_f32_e32 v2, s6, v2
	s_wait_loadcnt 0x1
	s_wait_xcnt 0x0
	v_sub_nc_u64_e64 v[0:1], v[4:5], s[2:3]
	s_wait_loadcnt 0x0
	v_cvt_f32_f16_e32 v3, v7
	s_delay_alu instid0(VALU_DEP_1) | instskip(NEXT) | instid1(VALU_DEP_3)
	v_mul_f32_e32 v2, v2, v3
	v_lshl_add_u64 v[0:1], v[0:1], 2, s[0:1]
	global_atomic_add_f32 v[0:1], v2, off scope:SCOPE_DEV
.LBB65_5:
	s_endpgm
	.section	.rodata,"a",@progbits
	.p2align	6, 0x0
	.amdhsa_kernel _ZN9rocsparseL13coomvt_kernelILj1024ElDF16_DF16_ffEEv20rocsparse_operation_lNS_24const_host_device_scalarIT4_EEPKT0_S7_PKT1_PKT2_PT3_21rocsparse_index_base_b
		.amdhsa_group_segment_fixed_size 0
		.amdhsa_private_segment_fixed_size 0
		.amdhsa_kernarg_size 328
		.amdhsa_user_sgpr_count 2
		.amdhsa_user_sgpr_dispatch_ptr 0
		.amdhsa_user_sgpr_queue_ptr 0
		.amdhsa_user_sgpr_kernarg_segment_ptr 1
		.amdhsa_user_sgpr_dispatch_id 0
		.amdhsa_user_sgpr_kernarg_preload_length 0
		.amdhsa_user_sgpr_kernarg_preload_offset 0
		.amdhsa_user_sgpr_private_segment_size 0
		.amdhsa_wavefront_size32 1
		.amdhsa_uses_dynamic_stack 0
		.amdhsa_enable_private_segment 0
		.amdhsa_system_sgpr_workgroup_id_x 1
		.amdhsa_system_sgpr_workgroup_id_y 0
		.amdhsa_system_sgpr_workgroup_id_z 0
		.amdhsa_system_sgpr_workgroup_info 0
		.amdhsa_system_vgpr_workitem_id 0
		.amdhsa_next_free_vgpr 8
		.amdhsa_next_free_sgpr 16
		.amdhsa_named_barrier_count 0
		.amdhsa_reserve_vcc 1
		.amdhsa_float_round_mode_32 0
		.amdhsa_float_round_mode_16_64 0
		.amdhsa_float_denorm_mode_32 3
		.amdhsa_float_denorm_mode_16_64 3
		.amdhsa_fp16_overflow 0
		.amdhsa_memory_ordered 1
		.amdhsa_forward_progress 1
		.amdhsa_inst_pref_size 3
		.amdhsa_round_robin_scheduling 0
		.amdhsa_exception_fp_ieee_invalid_op 0
		.amdhsa_exception_fp_denorm_src 0
		.amdhsa_exception_fp_ieee_div_zero 0
		.amdhsa_exception_fp_ieee_overflow 0
		.amdhsa_exception_fp_ieee_underflow 0
		.amdhsa_exception_fp_ieee_inexact 0
		.amdhsa_exception_int_div_zero 0
	.end_amdhsa_kernel
	.section	.text._ZN9rocsparseL13coomvt_kernelILj1024ElDF16_DF16_ffEEv20rocsparse_operation_lNS_24const_host_device_scalarIT4_EEPKT0_S7_PKT1_PKT2_PT3_21rocsparse_index_base_b,"axG",@progbits,_ZN9rocsparseL13coomvt_kernelILj1024ElDF16_DF16_ffEEv20rocsparse_operation_lNS_24const_host_device_scalarIT4_EEPKT0_S7_PKT1_PKT2_PT3_21rocsparse_index_base_b,comdat
.Lfunc_end65:
	.size	_ZN9rocsparseL13coomvt_kernelILj1024ElDF16_DF16_ffEEv20rocsparse_operation_lNS_24const_host_device_scalarIT4_EEPKT0_S7_PKT1_PKT2_PT3_21rocsparse_index_base_b, .Lfunc_end65-_ZN9rocsparseL13coomvt_kernelILj1024ElDF16_DF16_ffEEv20rocsparse_operation_lNS_24const_host_device_scalarIT4_EEPKT0_S7_PKT1_PKT2_PT3_21rocsparse_index_base_b
                                        ; -- End function
	.set _ZN9rocsparseL13coomvt_kernelILj1024ElDF16_DF16_ffEEv20rocsparse_operation_lNS_24const_host_device_scalarIT4_EEPKT0_S7_PKT1_PKT2_PT3_21rocsparse_index_base_b.num_vgpr, 8
	.set _ZN9rocsparseL13coomvt_kernelILj1024ElDF16_DF16_ffEEv20rocsparse_operation_lNS_24const_host_device_scalarIT4_EEPKT0_S7_PKT1_PKT2_PT3_21rocsparse_index_base_b.num_agpr, 0
	.set _ZN9rocsparseL13coomvt_kernelILj1024ElDF16_DF16_ffEEv20rocsparse_operation_lNS_24const_host_device_scalarIT4_EEPKT0_S7_PKT1_PKT2_PT3_21rocsparse_index_base_b.numbered_sgpr, 16
	.set _ZN9rocsparseL13coomvt_kernelILj1024ElDF16_DF16_ffEEv20rocsparse_operation_lNS_24const_host_device_scalarIT4_EEPKT0_S7_PKT1_PKT2_PT3_21rocsparse_index_base_b.num_named_barrier, 0
	.set _ZN9rocsparseL13coomvt_kernelILj1024ElDF16_DF16_ffEEv20rocsparse_operation_lNS_24const_host_device_scalarIT4_EEPKT0_S7_PKT1_PKT2_PT3_21rocsparse_index_base_b.private_seg_size, 0
	.set _ZN9rocsparseL13coomvt_kernelILj1024ElDF16_DF16_ffEEv20rocsparse_operation_lNS_24const_host_device_scalarIT4_EEPKT0_S7_PKT1_PKT2_PT3_21rocsparse_index_base_b.uses_vcc, 1
	.set _ZN9rocsparseL13coomvt_kernelILj1024ElDF16_DF16_ffEEv20rocsparse_operation_lNS_24const_host_device_scalarIT4_EEPKT0_S7_PKT1_PKT2_PT3_21rocsparse_index_base_b.uses_flat_scratch, 0
	.set _ZN9rocsparseL13coomvt_kernelILj1024ElDF16_DF16_ffEEv20rocsparse_operation_lNS_24const_host_device_scalarIT4_EEPKT0_S7_PKT1_PKT2_PT3_21rocsparse_index_base_b.has_dyn_sized_stack, 0
	.set _ZN9rocsparseL13coomvt_kernelILj1024ElDF16_DF16_ffEEv20rocsparse_operation_lNS_24const_host_device_scalarIT4_EEPKT0_S7_PKT1_PKT2_PT3_21rocsparse_index_base_b.has_recursion, 0
	.set _ZN9rocsparseL13coomvt_kernelILj1024ElDF16_DF16_ffEEv20rocsparse_operation_lNS_24const_host_device_scalarIT4_EEPKT0_S7_PKT1_PKT2_PT3_21rocsparse_index_base_b.has_indirect_call, 0
	.section	.AMDGPU.csdata,"",@progbits
; Kernel info:
; codeLenInByte = 344
; TotalNumSgprs: 18
; NumVgprs: 8
; ScratchSize: 0
; MemoryBound: 0
; FloatMode: 240
; IeeeMode: 1
; LDSByteSize: 0 bytes/workgroup (compile time only)
; SGPRBlocks: 0
; VGPRBlocks: 0
; NumSGPRsForWavesPerEU: 18
; NumVGPRsForWavesPerEU: 8
; NamedBarCnt: 0
; Occupancy: 16
; WaveLimiterHint : 1
; COMPUTE_PGM_RSRC2:SCRATCH_EN: 0
; COMPUTE_PGM_RSRC2:USER_SGPR: 2
; COMPUTE_PGM_RSRC2:TRAP_HANDLER: 0
; COMPUTE_PGM_RSRC2:TGID_X_EN: 1
; COMPUTE_PGM_RSRC2:TGID_Y_EN: 0
; COMPUTE_PGM_RSRC2:TGID_Z_EN: 0
; COMPUTE_PGM_RSRC2:TIDIG_COMP_CNT: 0
	.section	.text._ZN9rocsparseL19coomvn_atomic_loopsILj256ELj1ElDF16_DF16_ffEEvlNS_24const_host_device_scalarIT5_EEPKT1_S6_PKT2_PKT3_PT4_21rocsparse_index_base_b,"axG",@progbits,_ZN9rocsparseL19coomvn_atomic_loopsILj256ELj1ElDF16_DF16_ffEEvlNS_24const_host_device_scalarIT5_EEPKT1_S6_PKT2_PKT3_PT4_21rocsparse_index_base_b,comdat
	.globl	_ZN9rocsparseL19coomvn_atomic_loopsILj256ELj1ElDF16_DF16_ffEEvlNS_24const_host_device_scalarIT5_EEPKT1_S6_PKT2_PKT3_PT4_21rocsparse_index_base_b ; -- Begin function _ZN9rocsparseL19coomvn_atomic_loopsILj256ELj1ElDF16_DF16_ffEEvlNS_24const_host_device_scalarIT5_EEPKT1_S6_PKT2_PKT3_PT4_21rocsparse_index_base_b
	.p2align	8
	.type	_ZN9rocsparseL19coomvn_atomic_loopsILj256ELj1ElDF16_DF16_ffEEvlNS_24const_host_device_scalarIT5_EEPKT1_S6_PKT2_PKT3_PT4_21rocsparse_index_base_b,@function
_ZN9rocsparseL19coomvn_atomic_loopsILj256ELj1ElDF16_DF16_ffEEvlNS_24const_host_device_scalarIT5_EEPKT1_S6_PKT2_PKT3_PT4_21rocsparse_index_base_b: ; @_ZN9rocsparseL19coomvn_atomic_loopsILj256ELj1ElDF16_DF16_ffEEvlNS_24const_host_device_scalarIT5_EEPKT1_S6_PKT2_PKT3_PT4_21rocsparse_index_base_b
; %bb.0:
	s_clause 0x1
	s_load_b64 s[2:3], s[0:1], 0x38
	s_load_b128 s[4:7], s[0:1], 0x0
	s_wait_kmcnt 0x0
	s_bitcmp1_b32 s3, 0
	s_cselect_b32 s3, -1, 0
	s_delay_alu instid0(SALU_CYCLE_1)
	s_and_b32 vcc_lo, exec_lo, s3
	s_cbranch_vccnz .LBB66_2
; %bb.1:
	s_load_b32 s6, s[6:7], 0x0
.LBB66_2:
	s_wait_kmcnt 0x0
	s_cmp_eq_f32 s6, 0
	s_cbranch_scc1 .LBB66_42
; %bb.3:
	s_bfe_u32 s3, ttmp6, 0x4000c
	s_and_b32 s7, ttmp6, 15
	s_add_co_i32 s3, s3, 1
	s_getreg_b32 s8, hwreg(HW_REG_IB_STS2, 6, 4)
	s_mul_i32 s3, ttmp9, s3
	v_mov_b32_e32 v3, 0
	s_add_co_i32 s7, s7, s3
	s_cmp_eq_u32 s8, 0
	v_mov_b64_e32 v[4:5], -1
	s_cselect_b32 s3, ttmp9, s7
	s_delay_alu instid0(SALU_CYCLE_1) | instskip(NEXT) | instid1(VALU_DEP_1)
	v_lshl_or_b32 v2, s3, 8, v0
	v_cmp_gt_i64_e32 vcc_lo, s[4:5], v[2:3]
	s_and_saveexec_b32 s4, vcc_lo
	s_cbranch_execz .LBB66_5
; %bb.4:
	s_load_b256 s[8:15], s[0:1], 0x10
	v_lshlrev_b64_e32 v[4:5], 3, v[2:3]
	s_mov_b32 s3, 0
	s_wait_kmcnt 0x0
	s_delay_alu instid0(VALU_DEP_1)
	v_add_nc_u64_e32 v[6:7], s[10:11], v[4:5]
	v_lshl_add_u64 v[2:3], v[2:3], 1, s[12:13]
	v_add_nc_u64_e32 v[4:5], s[8:9], v[4:5]
	global_load_b64 v[6:7], v[6:7], off th:TH_LOAD_NT
	s_wait_loadcnt 0x0
	v_sub_nc_u64_e64 v[6:7], v[6:7], s[2:3]
	s_delay_alu instid0(VALU_DEP_1)
	v_lshl_add_u64 v[6:7], v[6:7], 1, s[14:15]
	global_load_u16 v1, v[2:3], off
	global_load_u16 v10, v[6:7], off
	global_load_b64 v[8:9], v[4:5], off th:TH_LOAD_NT
	s_wait_loadcnt 0x2
	v_cvt_f32_f16_e32 v1, v1
	s_wait_loadcnt 0x1
	v_cvt_f32_f16_e32 v2, v10
	s_wait_loadcnt 0x0
	v_sub_nc_u64_e64 v[4:5], v[8:9], s[2:3]
	s_delay_alu instid0(VALU_DEP_2)
	v_mul_f32_e32 v3, v1, v2
.LBB66_5:
	s_or_b32 exec_lo, exec_lo, s4
	v_dual_lshlrev_b32 v6, 2, v0 :: v_dual_lshlrev_b32 v1, 3, v0
	s_mov_b32 s2, exec_lo
	ds_store_b64 v1, v[4:5]
	ds_store_b32 v6, v3 offset:2048
	v_or_b32_e32 v2, 0x800, v6
	s_wait_dscnt 0x0
	s_barrier_signal -1
	s_barrier_wait -1
	v_cmpx_ne_u32_e32 0, v0
	s_cbranch_execz .LBB66_9
; %bb.6:
	v_add_nc_u32_e32 v6, -8, v1
	s_mov_b32 s3, exec_lo
	ds_load_b64 v[6:7], v6
	s_wait_dscnt 0x0
	v_cmpx_eq_u64_e64 v[4:5], v[6:7]
	s_cbranch_execz .LBB66_8
; %bb.7:
	v_add_nc_u32_e32 v6, -4, v2
	ds_load_b32 v6, v6
	s_wait_dscnt 0x0
	v_add_f32_e32 v3, v3, v6
.LBB66_8:
	s_or_b32 exec_lo, exec_lo, s3
.LBB66_9:
	s_delay_alu instid0(SALU_CYCLE_1) | instskip(NEXT) | instid1(SALU_CYCLE_1)
	s_or_b32 exec_lo, exec_lo, s2
	s_mov_b32 s2, exec_lo
	s_barrier_signal -1
	s_barrier_wait -1
	ds_store_b32 v2, v3
	s_wait_dscnt 0x0
	s_barrier_signal -1
	s_barrier_wait -1
	v_cmpx_lt_u32_e32 1, v0
	s_cbranch_execz .LBB66_13
; %bb.10:
	v_add_nc_u32_e32 v6, -16, v1
	s_mov_b32 s3, exec_lo
	ds_load_b64 v[6:7], v6
	s_wait_dscnt 0x0
	v_cmpx_eq_u64_e64 v[4:5], v[6:7]
	s_cbranch_execz .LBB66_12
; %bb.11:
	v_add_nc_u32_e32 v6, -8, v2
	ds_load_b32 v6, v6
	s_wait_dscnt 0x0
	v_add_f32_e32 v3, v3, v6
.LBB66_12:
	s_or_b32 exec_lo, exec_lo, s3
.LBB66_13:
	s_delay_alu instid0(SALU_CYCLE_1) | instskip(NEXT) | instid1(SALU_CYCLE_1)
	s_or_b32 exec_lo, exec_lo, s2
	s_mov_b32 s2, exec_lo
	s_barrier_signal -1
	s_barrier_wait -1
	ds_store_b32 v2, v3
	s_wait_dscnt 0x0
	s_barrier_signal -1
	s_barrier_wait -1
	v_cmpx_lt_u32_e32 3, v0
	s_cbranch_execz .LBB66_17
; %bb.14:
	v_subrev_nc_u32_e32 v6, 32, v1
	s_mov_b32 s3, exec_lo
	ds_load_b64 v[6:7], v6
	s_wait_dscnt 0x0
	v_cmpx_eq_u64_e64 v[4:5], v[6:7]
	s_cbranch_execz .LBB66_16
; %bb.15:
	v_add_nc_u32_e32 v6, -16, v2
	ds_load_b32 v6, v6
	s_wait_dscnt 0x0
	v_add_f32_e32 v3, v3, v6
.LBB66_16:
	s_or_b32 exec_lo, exec_lo, s3
.LBB66_17:
	s_delay_alu instid0(SALU_CYCLE_1) | instskip(NEXT) | instid1(SALU_CYCLE_1)
	s_or_b32 exec_lo, exec_lo, s2
	s_mov_b32 s2, exec_lo
	s_barrier_signal -1
	s_barrier_wait -1
	ds_store_b32 v2, v3
	s_wait_dscnt 0x0
	s_barrier_signal -1
	s_barrier_wait -1
	v_cmpx_lt_u32_e32 7, v0
	s_cbranch_execz .LBB66_21
; %bb.18:
	v_subrev_nc_u32_e32 v6, 64, v1
	s_mov_b32 s3, exec_lo
	ds_load_b64 v[6:7], v6
	s_wait_dscnt 0x0
	v_cmpx_eq_u64_e64 v[4:5], v[6:7]
	s_cbranch_execz .LBB66_20
; %bb.19:
	v_subrev_nc_u32_e32 v6, 32, v2
	ds_load_b32 v6, v6
	s_wait_dscnt 0x0
	v_add_f32_e32 v3, v3, v6
.LBB66_20:
	s_or_b32 exec_lo, exec_lo, s3
.LBB66_21:
	s_delay_alu instid0(SALU_CYCLE_1) | instskip(NEXT) | instid1(SALU_CYCLE_1)
	s_or_b32 exec_lo, exec_lo, s2
	s_mov_b32 s2, exec_lo
	s_barrier_signal -1
	s_barrier_wait -1
	ds_store_b32 v2, v3
	s_wait_dscnt 0x0
	s_barrier_signal -1
	s_barrier_wait -1
	v_cmpx_lt_u32_e32 15, v0
	s_cbranch_execz .LBB66_25
; %bb.22:
	v_add_nc_u32_e32 v6, 0xffffff80, v1
	s_mov_b32 s3, exec_lo
	ds_load_b64 v[6:7], v6
	s_wait_dscnt 0x0
	v_cmpx_eq_u64_e64 v[4:5], v[6:7]
	s_cbranch_execz .LBB66_24
; %bb.23:
	v_subrev_nc_u32_e32 v6, 64, v2
	ds_load_b32 v6, v6
	s_wait_dscnt 0x0
	v_add_f32_e32 v3, v3, v6
.LBB66_24:
	s_or_b32 exec_lo, exec_lo, s3
.LBB66_25:
	s_delay_alu instid0(SALU_CYCLE_1) | instskip(NEXT) | instid1(SALU_CYCLE_1)
	s_or_b32 exec_lo, exec_lo, s2
	s_mov_b32 s2, exec_lo
	s_barrier_signal -1
	s_barrier_wait -1
	ds_store_b32 v2, v3
	s_wait_dscnt 0x0
	s_barrier_signal -1
	s_barrier_wait -1
	v_cmpx_lt_u32_e32 31, v0
	s_cbranch_execz .LBB66_29
; %bb.26:
	v_add_nc_u32_e32 v6, 0xffffff00, v1
	s_mov_b32 s3, exec_lo
	ds_load_b64 v[6:7], v6
	s_wait_dscnt 0x0
	v_cmpx_eq_u64_e64 v[4:5], v[6:7]
	s_cbranch_execz .LBB66_28
; %bb.27:
	v_add_nc_u32_e32 v6, 0xffffff80, v2
	ds_load_b32 v6, v6
	s_wait_dscnt 0x0
	v_add_f32_e32 v3, v3, v6
.LBB66_28:
	s_or_b32 exec_lo, exec_lo, s3
.LBB66_29:
	s_delay_alu instid0(SALU_CYCLE_1) | instskip(NEXT) | instid1(SALU_CYCLE_1)
	s_or_b32 exec_lo, exec_lo, s2
	s_mov_b32 s2, exec_lo
	s_barrier_signal -1
	s_barrier_wait -1
	ds_store_b32 v2, v3
	s_wait_dscnt 0x0
	s_barrier_signal -1
	s_barrier_wait -1
	v_cmpx_lt_u32_e32 63, v0
	s_cbranch_execz .LBB66_33
; %bb.30:
	v_add_nc_u32_e32 v6, 0xfffffe00, v1
	s_mov_b32 s3, exec_lo
	ds_load_b64 v[6:7], v6
	s_wait_dscnt 0x0
	v_cmpx_eq_u64_e64 v[4:5], v[6:7]
	s_cbranch_execz .LBB66_32
; %bb.31:
	v_add_nc_u32_e32 v6, 0xffffff00, v2
	ds_load_b32 v6, v6
	s_wait_dscnt 0x0
	v_add_f32_e32 v3, v3, v6
.LBB66_32:
	s_or_b32 exec_lo, exec_lo, s3
.LBB66_33:
	;; [unrolled: 26-line block ×3, first 2 shown]
	s_delay_alu instid0(SALU_CYCLE_1)
	s_or_b32 exec_lo, exec_lo, s2
	s_load_b64 s[2:3], s[0:1], 0x30
	s_wait_xcnt 0x0
	s_mov_b32 s1, exec_lo
	s_barrier_signal -1
	s_barrier_wait -1
	ds_store_b32 v2, v3
	s_wait_dscnt 0x0
	s_barrier_signal -1
	s_barrier_wait -1
	v_cmpx_gt_u32_e32 0xff, v0
	s_cbranch_execz .LBB66_40
; %bb.38:
	ds_load_b64 v[6:7], v1 offset:8
	v_cmp_lt_i64_e64 s0, -1, v[4:5]
	s_wait_dscnt 0x0
	v_cmp_ne_u64_e32 vcc_lo, v[4:5], v[6:7]
	s_and_b32 s0, s0, vcc_lo
	s_delay_alu instid0(SALU_CYCLE_1)
	s_and_b32 exec_lo, exec_lo, s0
	s_cbranch_execz .LBB66_40
; %bb.39:
	s_wait_kmcnt 0x0
	v_lshl_add_u64 v[6:7], v[4:5], 2, s[2:3]
	v_mul_f32_e32 v1, s6, v3
	global_atomic_add_f32 v[6:7], v1, off scope:SCOPE_DEV
.LBB66_40:
	s_wait_xcnt 0x0
	s_or_b32 exec_lo, exec_lo, s1
	v_cmp_lt_i64_e32 vcc_lo, -1, v[4:5]
	v_cmp_eq_u32_e64 s0, 0xff, v0
	s_and_b32 s0, s0, vcc_lo
	s_delay_alu instid0(SALU_CYCLE_1)
	s_and_saveexec_b32 s1, s0
	s_cbranch_execz .LBB66_42
; %bb.41:
	s_wait_kmcnt 0x0
	v_lshl_add_u64 v[0:1], v[4:5], 2, s[2:3]
	v_mul_f32_e32 v2, s6, v3
	global_atomic_add_f32 v[0:1], v2, off scope:SCOPE_DEV
.LBB66_42:
	s_endpgm
	.section	.rodata,"a",@progbits
	.p2align	6, 0x0
	.amdhsa_kernel _ZN9rocsparseL19coomvn_atomic_loopsILj256ELj1ElDF16_DF16_ffEEvlNS_24const_host_device_scalarIT5_EEPKT1_S6_PKT2_PKT3_PT4_21rocsparse_index_base_b
		.amdhsa_group_segment_fixed_size 3072
		.amdhsa_private_segment_fixed_size 0
		.amdhsa_kernarg_size 64
		.amdhsa_user_sgpr_count 2
		.amdhsa_user_sgpr_dispatch_ptr 0
		.amdhsa_user_sgpr_queue_ptr 0
		.amdhsa_user_sgpr_kernarg_segment_ptr 1
		.amdhsa_user_sgpr_dispatch_id 0
		.amdhsa_user_sgpr_kernarg_preload_length 0
		.amdhsa_user_sgpr_kernarg_preload_offset 0
		.amdhsa_user_sgpr_private_segment_size 0
		.amdhsa_wavefront_size32 1
		.amdhsa_uses_dynamic_stack 0
		.amdhsa_enable_private_segment 0
		.amdhsa_system_sgpr_workgroup_id_x 1
		.amdhsa_system_sgpr_workgroup_id_y 0
		.amdhsa_system_sgpr_workgroup_id_z 0
		.amdhsa_system_sgpr_workgroup_info 0
		.amdhsa_system_vgpr_workitem_id 0
		.amdhsa_next_free_vgpr 11
		.amdhsa_next_free_sgpr 16
		.amdhsa_named_barrier_count 0
		.amdhsa_reserve_vcc 1
		.amdhsa_float_round_mode_32 0
		.amdhsa_float_round_mode_16_64 0
		.amdhsa_float_denorm_mode_32 3
		.amdhsa_float_denorm_mode_16_64 3
		.amdhsa_fp16_overflow 0
		.amdhsa_memory_ordered 1
		.amdhsa_forward_progress 1
		.amdhsa_inst_pref_size 11
		.amdhsa_round_robin_scheduling 0
		.amdhsa_exception_fp_ieee_invalid_op 0
		.amdhsa_exception_fp_denorm_src 0
		.amdhsa_exception_fp_ieee_div_zero 0
		.amdhsa_exception_fp_ieee_overflow 0
		.amdhsa_exception_fp_ieee_underflow 0
		.amdhsa_exception_fp_ieee_inexact 0
		.amdhsa_exception_int_div_zero 0
	.end_amdhsa_kernel
	.section	.text._ZN9rocsparseL19coomvn_atomic_loopsILj256ELj1ElDF16_DF16_ffEEvlNS_24const_host_device_scalarIT5_EEPKT1_S6_PKT2_PKT3_PT4_21rocsparse_index_base_b,"axG",@progbits,_ZN9rocsparseL19coomvn_atomic_loopsILj256ELj1ElDF16_DF16_ffEEvlNS_24const_host_device_scalarIT5_EEPKT1_S6_PKT2_PKT3_PT4_21rocsparse_index_base_b,comdat
.Lfunc_end66:
	.size	_ZN9rocsparseL19coomvn_atomic_loopsILj256ELj1ElDF16_DF16_ffEEvlNS_24const_host_device_scalarIT5_EEPKT1_S6_PKT2_PKT3_PT4_21rocsparse_index_base_b, .Lfunc_end66-_ZN9rocsparseL19coomvn_atomic_loopsILj256ELj1ElDF16_DF16_ffEEvlNS_24const_host_device_scalarIT5_EEPKT1_S6_PKT2_PKT3_PT4_21rocsparse_index_base_b
                                        ; -- End function
	.set _ZN9rocsparseL19coomvn_atomic_loopsILj256ELj1ElDF16_DF16_ffEEvlNS_24const_host_device_scalarIT5_EEPKT1_S6_PKT2_PKT3_PT4_21rocsparse_index_base_b.num_vgpr, 11
	.set _ZN9rocsparseL19coomvn_atomic_loopsILj256ELj1ElDF16_DF16_ffEEvlNS_24const_host_device_scalarIT5_EEPKT1_S6_PKT2_PKT3_PT4_21rocsparse_index_base_b.num_agpr, 0
	.set _ZN9rocsparseL19coomvn_atomic_loopsILj256ELj1ElDF16_DF16_ffEEvlNS_24const_host_device_scalarIT5_EEPKT1_S6_PKT2_PKT3_PT4_21rocsparse_index_base_b.numbered_sgpr, 16
	.set _ZN9rocsparseL19coomvn_atomic_loopsILj256ELj1ElDF16_DF16_ffEEvlNS_24const_host_device_scalarIT5_EEPKT1_S6_PKT2_PKT3_PT4_21rocsparse_index_base_b.num_named_barrier, 0
	.set _ZN9rocsparseL19coomvn_atomic_loopsILj256ELj1ElDF16_DF16_ffEEvlNS_24const_host_device_scalarIT5_EEPKT1_S6_PKT2_PKT3_PT4_21rocsparse_index_base_b.private_seg_size, 0
	.set _ZN9rocsparseL19coomvn_atomic_loopsILj256ELj1ElDF16_DF16_ffEEvlNS_24const_host_device_scalarIT5_EEPKT1_S6_PKT2_PKT3_PT4_21rocsparse_index_base_b.uses_vcc, 1
	.set _ZN9rocsparseL19coomvn_atomic_loopsILj256ELj1ElDF16_DF16_ffEEvlNS_24const_host_device_scalarIT5_EEPKT1_S6_PKT2_PKT3_PT4_21rocsparse_index_base_b.uses_flat_scratch, 0
	.set _ZN9rocsparseL19coomvn_atomic_loopsILj256ELj1ElDF16_DF16_ffEEvlNS_24const_host_device_scalarIT5_EEPKT1_S6_PKT2_PKT3_PT4_21rocsparse_index_base_b.has_dyn_sized_stack, 0
	.set _ZN9rocsparseL19coomvn_atomic_loopsILj256ELj1ElDF16_DF16_ffEEvlNS_24const_host_device_scalarIT5_EEPKT1_S6_PKT2_PKT3_PT4_21rocsparse_index_base_b.has_recursion, 0
	.set _ZN9rocsparseL19coomvn_atomic_loopsILj256ELj1ElDF16_DF16_ffEEvlNS_24const_host_device_scalarIT5_EEPKT1_S6_PKT2_PKT3_PT4_21rocsparse_index_base_b.has_indirect_call, 0
	.section	.AMDGPU.csdata,"",@progbits
; Kernel info:
; codeLenInByte = 1364
; TotalNumSgprs: 18
; NumVgprs: 11
; ScratchSize: 0
; MemoryBound: 0
; FloatMode: 240
; IeeeMode: 1
; LDSByteSize: 3072 bytes/workgroup (compile time only)
; SGPRBlocks: 0
; VGPRBlocks: 0
; NumSGPRsForWavesPerEU: 18
; NumVGPRsForWavesPerEU: 11
; NamedBarCnt: 0
; Occupancy: 16
; WaveLimiterHint : 1
; COMPUTE_PGM_RSRC2:SCRATCH_EN: 0
; COMPUTE_PGM_RSRC2:USER_SGPR: 2
; COMPUTE_PGM_RSRC2:TRAP_HANDLER: 0
; COMPUTE_PGM_RSRC2:TGID_X_EN: 1
; COMPUTE_PGM_RSRC2:TGID_Y_EN: 0
; COMPUTE_PGM_RSRC2:TGID_Z_EN: 0
; COMPUTE_PGM_RSRC2:TIDIG_COMP_CNT: 0
	.section	.text._ZN9rocsparseL19coomvn_atomic_loopsILj256ELj2ElDF16_DF16_ffEEvlNS_24const_host_device_scalarIT5_EEPKT1_S6_PKT2_PKT3_PT4_21rocsparse_index_base_b,"axG",@progbits,_ZN9rocsparseL19coomvn_atomic_loopsILj256ELj2ElDF16_DF16_ffEEvlNS_24const_host_device_scalarIT5_EEPKT1_S6_PKT2_PKT3_PT4_21rocsparse_index_base_b,comdat
	.globl	_ZN9rocsparseL19coomvn_atomic_loopsILj256ELj2ElDF16_DF16_ffEEvlNS_24const_host_device_scalarIT5_EEPKT1_S6_PKT2_PKT3_PT4_21rocsparse_index_base_b ; -- Begin function _ZN9rocsparseL19coomvn_atomic_loopsILj256ELj2ElDF16_DF16_ffEEvlNS_24const_host_device_scalarIT5_EEPKT1_S6_PKT2_PKT3_PT4_21rocsparse_index_base_b
	.p2align	8
	.type	_ZN9rocsparseL19coomvn_atomic_loopsILj256ELj2ElDF16_DF16_ffEEvlNS_24const_host_device_scalarIT5_EEPKT1_S6_PKT2_PKT3_PT4_21rocsparse_index_base_b,@function
_ZN9rocsparseL19coomvn_atomic_loopsILj256ELj2ElDF16_DF16_ffEEvlNS_24const_host_device_scalarIT5_EEPKT1_S6_PKT2_PKT3_PT4_21rocsparse_index_base_b: ; @_ZN9rocsparseL19coomvn_atomic_loopsILj256ELj2ElDF16_DF16_ffEEvlNS_24const_host_device_scalarIT5_EEPKT1_S6_PKT2_PKT3_PT4_21rocsparse_index_base_b
; %bb.0:
	s_clause 0x1
	s_load_b64 s[24:25], s[0:1], 0x38
	s_load_b128 s[20:23], s[0:1], 0x0
	s_wait_kmcnt 0x0
	s_bitcmp1_b32 s25, 0
	s_cselect_b32 s2, -1, 0
	s_delay_alu instid0(SALU_CYCLE_1)
	s_and_b32 vcc_lo, exec_lo, s2
	s_cbranch_vccnz .LBB67_2
; %bb.1:
	s_load_b32 s22, s[22:23], 0x0
.LBB67_2:
	s_wait_kmcnt 0x0
	s_cmp_eq_f32 s22, 0
	s_cbranch_scc1 .LBB67_88
; %bb.3:
	s_load_b256 s[12:19], s[0:1], 0x10
	s_bfe_u32 s2, ttmp6, 0x4000c
	s_and_b32 s3, ttmp6, 15
	s_add_co_i32 s2, s2, 1
	s_getreg_b32 s4, hwreg(HW_REG_IB_STS2, 6, 4)
	s_mul_i32 s2, ttmp9, s2
	v_mov_b32_e32 v7, 0
	s_add_co_i32 s3, s3, s2
	s_cmp_eq_u32 s4, 0
	v_mov_b64_e32 v[8:9], -1
	s_cselect_b32 s2, ttmp9, s3
	v_mov_b32_e32 v19, v7
	v_lshl_or_b32 v6, s2, 9, v0
	s_mov_b32 s2, exec_lo
	s_delay_alu instid0(VALU_DEP_1)
	v_lshlrev_b64_e32 v[4:5], 3, v[6:7]
	s_wait_kmcnt 0x0
	v_lshl_add_u64 v[2:3], v[6:7], 1, s[16:17]
	v_cmpx_gt_i64_e64 s[20:21], v[6:7]
	s_cbranch_execz .LBB67_5
; %bb.4:
	s_delay_alu instid0(VALU_DEP_3)
	v_add_nc_u64_e32 v[8:9], s[14:15], v[4:5]
	s_mov_b32 s25, 0
	v_add_nc_u64_e32 v[10:11], s[12:13], v[4:5]
	global_load_b64 v[8:9], v[8:9], off th:TH_LOAD_NT
	s_wait_loadcnt 0x0
	v_sub_nc_u64_e64 v[8:9], v[8:9], s[24:25]
	s_delay_alu instid0(VALU_DEP_1)
	v_lshl_add_u64 v[8:9], v[8:9], 1, s[18:19]
	global_load_u16 v1, v[2:3], off
	global_load_u16 v14, v[8:9], off
	global_load_b64 v[12:13], v[10:11], off th:TH_LOAD_NT
	s_wait_loadcnt 0x2
	v_cvt_f32_f16_e32 v1, v1
	s_wait_loadcnt 0x1
	s_wait_xcnt 0x0
	v_cvt_f32_f16_e32 v10, v14
	s_wait_loadcnt 0x0
	v_sub_nc_u64_e64 v[8:9], v[12:13], s[24:25]
	s_delay_alu instid0(VALU_DEP_2)
	v_mul_f32_e32 v19, v1, v10
.LBB67_5:
	s_or_b32 exec_lo, exec_lo, s2
	v_dual_lshlrev_b32 v11, 2, v0 :: v_dual_lshlrev_b32 v1, 3, v0
	v_cmp_ne_u32_e64 s2, 0, v0
	v_cmp_eq_u32_e32 vcc_lo, 0, v0
	ds_store_b64 v1, v[8:9]
	ds_store_b32 v11, v19 offset:2048
	v_or_b32_e32 v10, 0x800, v11
	v_add_nc_u32_e32 v11, -8, v1
	s_wait_dscnt 0x0
	s_barrier_signal -1
	s_barrier_wait -1
	s_and_saveexec_b32 s4, s2
	s_cbranch_execz .LBB67_9
; %bb.6:
	ds_load_b64 v[12:13], v11
	s_mov_b32 s5, exec_lo
	s_wait_dscnt 0x0
	v_cmpx_eq_u64_e64 v[8:9], v[12:13]
	s_cbranch_execz .LBB67_8
; %bb.7:
	v_add_nc_u32_e32 v12, -4, v10
	ds_load_b32 v12, v12
	s_wait_dscnt 0x0
	v_add_f32_e32 v19, v19, v12
.LBB67_8:
	s_or_b32 exec_lo, exec_lo, s5
.LBB67_9:
	s_delay_alu instid0(SALU_CYCLE_1)
	s_or_b32 exec_lo, exec_lo, s4
	v_cmp_lt_u32_e64 s3, 1, v0
	v_add_nc_u32_e32 v12, -16, v1
	s_barrier_signal -1
	s_barrier_wait -1
	ds_store_b32 v10, v19
	s_wait_dscnt 0x0
	s_barrier_signal -1
	s_barrier_wait -1
	s_and_saveexec_b32 s5, s3
	s_cbranch_execz .LBB67_13
; %bb.10:
	ds_load_b64 v[14:15], v12
	s_mov_b32 s6, exec_lo
	s_wait_dscnt 0x0
	v_cmpx_eq_u64_e64 v[8:9], v[14:15]
	s_cbranch_execz .LBB67_12
; %bb.11:
	v_add_nc_u32_e32 v13, -8, v10
	ds_load_b32 v13, v13
	s_wait_dscnt 0x0
	v_add_f32_e32 v19, v19, v13
.LBB67_12:
	s_or_b32 exec_lo, exec_lo, s6
.LBB67_13:
	s_delay_alu instid0(SALU_CYCLE_1)
	s_or_b32 exec_lo, exec_lo, s5
	v_cmp_lt_u32_e64 s4, 3, v0
	v_subrev_nc_u32_e32 v13, 32, v1
	s_barrier_signal -1
	s_barrier_wait -1
	ds_store_b32 v10, v19
	s_wait_dscnt 0x0
	s_barrier_signal -1
	s_barrier_wait -1
	s_and_saveexec_b32 s6, s4
	s_cbranch_execz .LBB67_17
; %bb.14:
	ds_load_b64 v[14:15], v13
	s_mov_b32 s7, exec_lo
	s_wait_dscnt 0x0
	v_cmpx_eq_u64_e64 v[8:9], v[14:15]
	s_cbranch_execz .LBB67_16
; %bb.15:
	v_add_nc_u32_e32 v14, -16, v10
	ds_load_b32 v14, v14
	s_wait_dscnt 0x0
	v_add_f32_e32 v19, v19, v14
.LBB67_16:
	s_or_b32 exec_lo, exec_lo, s7
.LBB67_17:
	s_delay_alu instid0(SALU_CYCLE_1)
	s_or_b32 exec_lo, exec_lo, s6
	v_cmp_lt_u32_e64 s5, 7, v0
	v_subrev_nc_u32_e32 v14, 64, v1
	s_barrier_signal -1
	s_barrier_wait -1
	ds_store_b32 v10, v19
	s_wait_dscnt 0x0
	s_barrier_signal -1
	s_barrier_wait -1
	s_and_saveexec_b32 s7, s5
	s_cbranch_execz .LBB67_21
; %bb.18:
	ds_load_b64 v[16:17], v14
	s_mov_b32 s8, exec_lo
	s_wait_dscnt 0x0
	v_cmpx_eq_u64_e64 v[8:9], v[16:17]
	s_cbranch_execz .LBB67_20
; %bb.19:
	v_subrev_nc_u32_e32 v15, 32, v10
	ds_load_b32 v15, v15
	s_wait_dscnt 0x0
	v_add_f32_e32 v19, v19, v15
.LBB67_20:
	s_or_b32 exec_lo, exec_lo, s8
.LBB67_21:
	s_delay_alu instid0(SALU_CYCLE_1)
	s_or_b32 exec_lo, exec_lo, s7
	v_cmp_lt_u32_e64 s6, 15, v0
	v_add_nc_u32_e32 v15, 0xffffff80, v1
	s_barrier_signal -1
	s_barrier_wait -1
	ds_store_b32 v10, v19
	s_wait_dscnt 0x0
	s_barrier_signal -1
	s_barrier_wait -1
	s_and_saveexec_b32 s8, s6
	s_cbranch_execz .LBB67_25
; %bb.22:
	ds_load_b64 v[16:17], v15
	s_mov_b32 s9, exec_lo
	s_wait_dscnt 0x0
	v_cmpx_eq_u64_e64 v[8:9], v[16:17]
	s_cbranch_execz .LBB67_24
; %bb.23:
	v_subrev_nc_u32_e32 v16, 64, v10
	ds_load_b32 v16, v16
	s_wait_dscnt 0x0
	v_add_f32_e32 v19, v19, v16
.LBB67_24:
	s_or_b32 exec_lo, exec_lo, s9
.LBB67_25:
	s_delay_alu instid0(SALU_CYCLE_1)
	s_or_b32 exec_lo, exec_lo, s8
	v_cmp_lt_u32_e64 s7, 31, v0
	v_add_nc_u32_e32 v16, 0xffffff00, v1
	s_barrier_signal -1
	s_barrier_wait -1
	ds_store_b32 v10, v19
	s_wait_dscnt 0x0
	s_barrier_signal -1
	s_barrier_wait -1
	s_and_saveexec_b32 s9, s7
	s_cbranch_execz .LBB67_29
; %bb.26:
	ds_load_b64 v[20:21], v16
	s_mov_b32 s10, exec_lo
	s_wait_dscnt 0x0
	v_cmpx_eq_u64_e64 v[8:9], v[20:21]
	s_cbranch_execz .LBB67_28
; %bb.27:
	v_add_nc_u32_e32 v17, 0xffffff80, v10
	ds_load_b32 v17, v17
	s_wait_dscnt 0x0
	v_add_f32_e32 v19, v19, v17
.LBB67_28:
	s_or_b32 exec_lo, exec_lo, s10
.LBB67_29:
	s_delay_alu instid0(SALU_CYCLE_1)
	s_or_b32 exec_lo, exec_lo, s9
	v_cmp_lt_u32_e64 s8, 63, v0
	v_add_nc_u32_e32 v17, 0xfffffe00, v1
	s_barrier_signal -1
	s_barrier_wait -1
	ds_store_b32 v10, v19
	s_wait_dscnt 0x0
	s_barrier_signal -1
	s_barrier_wait -1
	s_and_saveexec_b32 s10, s8
	s_cbranch_execz .LBB67_33
; %bb.30:
	ds_load_b64 v[20:21], v17
	s_mov_b32 s11, exec_lo
	s_wait_dscnt 0x0
	v_cmpx_eq_u64_e64 v[8:9], v[20:21]
	s_cbranch_execz .LBB67_32
; %bb.31:
	v_add_nc_u32_e32 v18, 0xffffff00, v10
	ds_load_b32 v18, v18
	s_wait_dscnt 0x0
	v_add_f32_e32 v19, v19, v18
.LBB67_32:
	s_or_b32 exec_lo, exec_lo, s11
.LBB67_33:
	;; [unrolled: 26-line block ×3, first 2 shown]
	s_delay_alu instid0(SALU_CYCLE_1)
	s_or_b32 exec_lo, exec_lo, s11
	s_load_b64 s[16:17], s[0:1], 0x30
	s_wait_xcnt 0x0
	v_cmp_gt_u32_e64 s0, 0xff, v0
	s_barrier_signal -1
	s_barrier_wait -1
	ds_store_b32 v10, v19
	s_wait_dscnt 0x0
	s_barrier_signal -1
	s_barrier_wait -1
	s_and_saveexec_b32 s11, s0
	s_cbranch_execz .LBB67_40
; %bb.38:
	ds_load_b64 v[20:21], v1 offset:8
	v_cmp_lt_i64_e64 s10, -1, v[8:9]
	s_wait_dscnt 0x0
	v_cmp_ne_u64_e64 s1, v[8:9], v[20:21]
	s_and_b32 s1, s10, s1
	s_delay_alu instid0(SALU_CYCLE_1)
	s_and_b32 exec_lo, exec_lo, s1
	s_cbranch_execz .LBB67_40
; %bb.39:
	s_wait_kmcnt 0x0
	v_lshl_add_u64 v[8:9], v[8:9], 2, s[16:17]
	v_mul_f32_e32 v19, s22, v19
	global_atomic_add_f32 v[8:9], v19, off scope:SCOPE_DEV
.LBB67_40:
	s_wait_xcnt 0x0
	s_or_b32 exec_lo, exec_lo, s11
	v_add_nc_u64_e32 v[6:7], 0x100, v[6:7]
	v_mov_b32_e32 v8, 0
	s_delay_alu instid0(VALU_DEP_2)
	v_cmp_gt_i64_e64 s1, s[20:21], v[6:7]
	v_mov_b64_e32 v[6:7], -1
	s_and_saveexec_b32 s10, s1
	s_cbranch_execz .LBB67_42
; %bb.41:
	v_add_nc_u64_e32 v[6:7], s[14:15], v[4:5]
	s_mov_b32 s25, 0
	v_add_nc_u64_e32 v[4:5], s[12:13], v[4:5]
	global_load_b64 v[6:7], v[6:7], off offset:2048 th:TH_LOAD_NT
	s_wait_loadcnt 0x0
	v_sub_nc_u64_e64 v[6:7], v[6:7], s[24:25]
	s_delay_alu instid0(VALU_DEP_1)
	v_lshl_add_u64 v[6:7], v[6:7], 1, s[18:19]
	global_load_u16 v19, v[2:3], off offset:512
	global_load_u16 v20, v[6:7], off
	global_load_b64 v[8:9], v[4:5], off offset:2048 th:TH_LOAD_NT
	s_wait_loadcnt 0x2
	s_wait_xcnt 0x2
	v_cvt_f32_f16_e32 v2, v19
	s_wait_loadcnt 0x1
	v_cvt_f32_f16_e32 v3, v20
	s_wait_loadcnt 0x0
	s_wait_xcnt 0x1
	v_sub_nc_u64_e64 v[6:7], v[8:9], s[24:25]
	s_delay_alu instid0(VALU_DEP_2)
	v_mul_f32_e32 v8, v2, v3
.LBB67_42:
	s_wait_xcnt 0x0
	s_or_b32 exec_lo, exec_lo, s10
	s_and_saveexec_b32 s1, vcc_lo
	s_cbranch_execz .LBB67_51
; %bb.43:
	v_mov_b32_e32 v2, 0
	s_mov_b32 s10, exec_lo
	ds_load_b64 v[2:3], v2 offset:2040
	s_wait_dscnt 0x0
	v_cmpx_ne_u64_e64 v[6:7], v[2:3]
	s_xor_b32 s10, exec_lo, s10
	s_cbranch_execz .LBB67_48
; %bb.44:
	v_cmp_gt_i64_e32 vcc_lo, 0, v[2:3]
	s_cbranch_vccnz .LBB67_48
; %bb.45:
	s_mov_b32 s12, exec_lo
	s_mov_b32 s11, exec_lo
	v_mbcnt_lo_u32_b32 v4, s12, 0
	s_delay_alu instid0(VALU_DEP_1)
	v_cmpx_eq_u32_e32 0, v4
	s_cbranch_execz .LBB67_47
; %bb.46:
	v_mov_b32_e32 v4, 0
	v_lshlrev_b64_e32 v[2:3], 2, v[2:3]
	s_bcnt1_i32_b32 s12, s12
	s_delay_alu instid0(SALU_CYCLE_1)
	v_cvt_f32_ubyte0_e32 v5, s12
	ds_load_b32 v4, v4 offset:3068
	s_wait_kmcnt 0x0
	v_add_nc_u64_e32 v[2:3], s[16:17], v[2:3]
	s_wait_dscnt 0x0
	v_mul_f32_e32 v4, s22, v4
	s_delay_alu instid0(VALU_DEP_1)
	v_mul_f32_e32 v4, v4, v5
	global_atomic_add_f32 v[2:3], v4, off scope:SCOPE_DEV
.LBB67_47:
	s_wait_xcnt 0x0
	s_or_b32 exec_lo, exec_lo, s11
.LBB67_48:
	s_and_not1_saveexec_b32 s10, s10
	s_cbranch_execz .LBB67_50
; %bb.49:
	v_mov_b32_e32 v2, 0
	ds_load_b32 v2, v2 offset:3068
	s_wait_dscnt 0x0
	v_add_f32_e32 v8, v8, v2
.LBB67_50:
	s_or_b32 exec_lo, exec_lo, s10
.LBB67_51:
	s_delay_alu instid0(SALU_CYCLE_1)
	s_or_b32 exec_lo, exec_lo, s1
	s_wait_storecnt 0x0
	s_barrier_signal -1
	s_barrier_wait -1
	ds_store_b64 v1, v[6:7]
	ds_store_b32 v10, v8
	s_wait_dscnt 0x0
	s_barrier_signal -1
	s_barrier_wait -1
	s_and_saveexec_b32 s1, s2
	s_cbranch_execz .LBB67_55
; %bb.52:
	ds_load_b64 v[2:3], v11
	s_mov_b32 s2, exec_lo
	s_wait_dscnt 0x0
	v_cmpx_eq_u64_e64 v[6:7], v[2:3]
	s_cbranch_execz .LBB67_54
; %bb.53:
	v_add_nc_u32_e32 v2, -4, v10
	ds_load_b32 v2, v2
	s_wait_dscnt 0x0
	v_add_f32_e32 v8, v8, v2
.LBB67_54:
	s_or_b32 exec_lo, exec_lo, s2
.LBB67_55:
	s_delay_alu instid0(SALU_CYCLE_1)
	s_or_b32 exec_lo, exec_lo, s1
	s_barrier_signal -1
	s_barrier_wait -1
	ds_store_b32 v10, v8
	s_wait_dscnt 0x0
	s_barrier_signal -1
	s_barrier_wait -1
	s_and_saveexec_b32 s1, s3
	s_cbranch_execz .LBB67_59
; %bb.56:
	ds_load_b64 v[2:3], v12
	s_mov_b32 s2, exec_lo
	s_wait_dscnt 0x0
	v_cmpx_eq_u64_e64 v[6:7], v[2:3]
	s_cbranch_execz .LBB67_58
; %bb.57:
	v_add_nc_u32_e32 v2, -8, v10
	ds_load_b32 v2, v2
	s_wait_dscnt 0x0
	v_add_f32_e32 v8, v8, v2
.LBB67_58:
	s_or_b32 exec_lo, exec_lo, s2
.LBB67_59:
	s_delay_alu instid0(SALU_CYCLE_1)
	s_or_b32 exec_lo, exec_lo, s1
	s_barrier_signal -1
	s_barrier_wait -1
	;; [unrolled: 24-line block ×3, first 2 shown]
	ds_store_b32 v10, v8
	s_wait_dscnt 0x0
	s_barrier_signal -1
	s_barrier_wait -1
	s_and_saveexec_b32 s1, s5
	s_cbranch_execz .LBB67_67
; %bb.64:
	ds_load_b64 v[2:3], v14
	s_mov_b32 s2, exec_lo
	s_wait_dscnt 0x0
	v_cmpx_eq_u64_e64 v[6:7], v[2:3]
	s_cbranch_execz .LBB67_66
; %bb.65:
	v_subrev_nc_u32_e32 v2, 32, v10
	ds_load_b32 v2, v2
	s_wait_dscnt 0x0
	v_add_f32_e32 v8, v8, v2
.LBB67_66:
	s_or_b32 exec_lo, exec_lo, s2
.LBB67_67:
	s_delay_alu instid0(SALU_CYCLE_1)
	s_or_b32 exec_lo, exec_lo, s1
	s_barrier_signal -1
	s_barrier_wait -1
	ds_store_b32 v10, v8
	s_wait_dscnt 0x0
	s_barrier_signal -1
	s_barrier_wait -1
	s_and_saveexec_b32 s1, s6
	s_cbranch_execz .LBB67_71
; %bb.68:
	ds_load_b64 v[2:3], v15
	s_mov_b32 s2, exec_lo
	s_wait_dscnt 0x0
	v_cmpx_eq_u64_e64 v[6:7], v[2:3]
	s_cbranch_execz .LBB67_70
; %bb.69:
	v_subrev_nc_u32_e32 v2, 64, v10
	ds_load_b32 v2, v2
	s_wait_dscnt 0x0
	v_add_f32_e32 v8, v8, v2
.LBB67_70:
	s_or_b32 exec_lo, exec_lo, s2
.LBB67_71:
	s_delay_alu instid0(SALU_CYCLE_1)
	s_or_b32 exec_lo, exec_lo, s1
	s_barrier_signal -1
	s_barrier_wait -1
	ds_store_b32 v10, v8
	s_wait_dscnt 0x0
	s_barrier_signal -1
	s_barrier_wait -1
	s_and_saveexec_b32 s1, s7
	s_cbranch_execz .LBB67_75
; %bb.72:
	ds_load_b64 v[2:3], v16
	s_mov_b32 s2, exec_lo
	s_wait_dscnt 0x0
	v_cmpx_eq_u64_e64 v[6:7], v[2:3]
	s_cbranch_execz .LBB67_74
; %bb.73:
	v_add_nc_u32_e32 v2, 0xffffff80, v10
	ds_load_b32 v2, v2
	s_wait_dscnt 0x0
	v_add_f32_e32 v8, v8, v2
.LBB67_74:
	s_or_b32 exec_lo, exec_lo, s2
.LBB67_75:
	s_delay_alu instid0(SALU_CYCLE_1)
	s_or_b32 exec_lo, exec_lo, s1
	s_barrier_signal -1
	s_barrier_wait -1
	ds_store_b32 v10, v8
	s_wait_dscnt 0x0
	s_barrier_signal -1
	s_barrier_wait -1
	s_and_saveexec_b32 s1, s8
	s_cbranch_execz .LBB67_79
; %bb.76:
	ds_load_b64 v[2:3], v17
	s_mov_b32 s2, exec_lo
	s_wait_dscnt 0x0
	v_cmpx_eq_u64_e64 v[6:7], v[2:3]
	s_cbranch_execz .LBB67_78
; %bb.77:
	v_add_nc_u32_e32 v2, 0xffffff00, v10
	ds_load_b32 v2, v2
	s_wait_dscnt 0x0
	v_add_f32_e32 v8, v8, v2
.LBB67_78:
	s_or_b32 exec_lo, exec_lo, s2
.LBB67_79:
	;; [unrolled: 24-line block ×3, first 2 shown]
	s_delay_alu instid0(SALU_CYCLE_1)
	s_or_b32 exec_lo, exec_lo, s1
	s_barrier_signal -1
	s_barrier_wait -1
	ds_store_b32 v10, v8
	s_wait_dscnt 0x0
	s_barrier_signal -1
	s_barrier_wait -1
	s_and_saveexec_b32 s1, s0
	s_cbranch_execz .LBB67_86
; %bb.84:
	ds_load_b64 v[2:3], v1 offset:8
	v_cmp_lt_i64_e64 s0, -1, v[6:7]
	s_wait_dscnt 0x0
	v_cmp_ne_u64_e32 vcc_lo, v[6:7], v[2:3]
	s_and_b32 s0, s0, vcc_lo
	s_delay_alu instid0(SALU_CYCLE_1)
	s_and_b32 exec_lo, exec_lo, s0
	s_cbranch_execz .LBB67_86
; %bb.85:
	s_wait_kmcnt 0x0
	v_lshl_add_u64 v[2:3], v[6:7], 2, s[16:17]
	v_mul_f32_e32 v1, s22, v8
	global_atomic_add_f32 v[2:3], v1, off scope:SCOPE_DEV
.LBB67_86:
	s_wait_xcnt 0x0
	s_or_b32 exec_lo, exec_lo, s1
	v_cmp_lt_i64_e32 vcc_lo, -1, v[6:7]
	v_cmp_eq_u32_e64 s0, 0xff, v0
	s_and_b32 s0, s0, vcc_lo
	s_delay_alu instid0(SALU_CYCLE_1)
	s_and_saveexec_b32 s1, s0
	s_cbranch_execz .LBB67_88
; %bb.87:
	s_wait_kmcnt 0x0
	v_lshl_add_u64 v[0:1], v[6:7], 2, s[16:17]
	v_mul_f32_e32 v2, s22, v8
	global_atomic_add_f32 v[0:1], v2, off scope:SCOPE_DEV
.LBB67_88:
	s_endpgm
	.section	.rodata,"a",@progbits
	.p2align	6, 0x0
	.amdhsa_kernel _ZN9rocsparseL19coomvn_atomic_loopsILj256ELj2ElDF16_DF16_ffEEvlNS_24const_host_device_scalarIT5_EEPKT1_S6_PKT2_PKT3_PT4_21rocsparse_index_base_b
		.amdhsa_group_segment_fixed_size 3072
		.amdhsa_private_segment_fixed_size 0
		.amdhsa_kernarg_size 64
		.amdhsa_user_sgpr_count 2
		.amdhsa_user_sgpr_dispatch_ptr 0
		.amdhsa_user_sgpr_queue_ptr 0
		.amdhsa_user_sgpr_kernarg_segment_ptr 1
		.amdhsa_user_sgpr_dispatch_id 0
		.amdhsa_user_sgpr_kernarg_preload_length 0
		.amdhsa_user_sgpr_kernarg_preload_offset 0
		.amdhsa_user_sgpr_private_segment_size 0
		.amdhsa_wavefront_size32 1
		.amdhsa_uses_dynamic_stack 0
		.amdhsa_enable_private_segment 0
		.amdhsa_system_sgpr_workgroup_id_x 1
		.amdhsa_system_sgpr_workgroup_id_y 0
		.amdhsa_system_sgpr_workgroup_id_z 0
		.amdhsa_system_sgpr_workgroup_info 0
		.amdhsa_system_vgpr_workitem_id 0
		.amdhsa_next_free_vgpr 22
		.amdhsa_next_free_sgpr 26
		.amdhsa_named_barrier_count 0
		.amdhsa_reserve_vcc 1
		.amdhsa_float_round_mode_32 0
		.amdhsa_float_round_mode_16_64 0
		.amdhsa_float_denorm_mode_32 3
		.amdhsa_float_denorm_mode_16_64 3
		.amdhsa_fp16_overflow 0
		.amdhsa_memory_ordered 1
		.amdhsa_forward_progress 1
		.amdhsa_inst_pref_size 21
		.amdhsa_round_robin_scheduling 0
		.amdhsa_exception_fp_ieee_invalid_op 0
		.amdhsa_exception_fp_denorm_src 0
		.amdhsa_exception_fp_ieee_div_zero 0
		.amdhsa_exception_fp_ieee_overflow 0
		.amdhsa_exception_fp_ieee_underflow 0
		.amdhsa_exception_fp_ieee_inexact 0
		.amdhsa_exception_int_div_zero 0
	.end_amdhsa_kernel
	.section	.text._ZN9rocsparseL19coomvn_atomic_loopsILj256ELj2ElDF16_DF16_ffEEvlNS_24const_host_device_scalarIT5_EEPKT1_S6_PKT2_PKT3_PT4_21rocsparse_index_base_b,"axG",@progbits,_ZN9rocsparseL19coomvn_atomic_loopsILj256ELj2ElDF16_DF16_ffEEvlNS_24const_host_device_scalarIT5_EEPKT1_S6_PKT2_PKT3_PT4_21rocsparse_index_base_b,comdat
.Lfunc_end67:
	.size	_ZN9rocsparseL19coomvn_atomic_loopsILj256ELj2ElDF16_DF16_ffEEvlNS_24const_host_device_scalarIT5_EEPKT1_S6_PKT2_PKT3_PT4_21rocsparse_index_base_b, .Lfunc_end67-_ZN9rocsparseL19coomvn_atomic_loopsILj256ELj2ElDF16_DF16_ffEEvlNS_24const_host_device_scalarIT5_EEPKT1_S6_PKT2_PKT3_PT4_21rocsparse_index_base_b
                                        ; -- End function
	.set _ZN9rocsparseL19coomvn_atomic_loopsILj256ELj2ElDF16_DF16_ffEEvlNS_24const_host_device_scalarIT5_EEPKT1_S6_PKT2_PKT3_PT4_21rocsparse_index_base_b.num_vgpr, 22
	.set _ZN9rocsparseL19coomvn_atomic_loopsILj256ELj2ElDF16_DF16_ffEEvlNS_24const_host_device_scalarIT5_EEPKT1_S6_PKT2_PKT3_PT4_21rocsparse_index_base_b.num_agpr, 0
	.set _ZN9rocsparseL19coomvn_atomic_loopsILj256ELj2ElDF16_DF16_ffEEvlNS_24const_host_device_scalarIT5_EEPKT1_S6_PKT2_PKT3_PT4_21rocsparse_index_base_b.numbered_sgpr, 26
	.set _ZN9rocsparseL19coomvn_atomic_loopsILj256ELj2ElDF16_DF16_ffEEvlNS_24const_host_device_scalarIT5_EEPKT1_S6_PKT2_PKT3_PT4_21rocsparse_index_base_b.num_named_barrier, 0
	.set _ZN9rocsparseL19coomvn_atomic_loopsILj256ELj2ElDF16_DF16_ffEEvlNS_24const_host_device_scalarIT5_EEPKT1_S6_PKT2_PKT3_PT4_21rocsparse_index_base_b.private_seg_size, 0
	.set _ZN9rocsparseL19coomvn_atomic_loopsILj256ELj2ElDF16_DF16_ffEEvlNS_24const_host_device_scalarIT5_EEPKT1_S6_PKT2_PKT3_PT4_21rocsparse_index_base_b.uses_vcc, 1
	.set _ZN9rocsparseL19coomvn_atomic_loopsILj256ELj2ElDF16_DF16_ffEEvlNS_24const_host_device_scalarIT5_EEPKT1_S6_PKT2_PKT3_PT4_21rocsparse_index_base_b.uses_flat_scratch, 0
	.set _ZN9rocsparseL19coomvn_atomic_loopsILj256ELj2ElDF16_DF16_ffEEvlNS_24const_host_device_scalarIT5_EEPKT1_S6_PKT2_PKT3_PT4_21rocsparse_index_base_b.has_dyn_sized_stack, 0
	.set _ZN9rocsparseL19coomvn_atomic_loopsILj256ELj2ElDF16_DF16_ffEEvlNS_24const_host_device_scalarIT5_EEPKT1_S6_PKT2_PKT3_PT4_21rocsparse_index_base_b.has_recursion, 0
	.set _ZN9rocsparseL19coomvn_atomic_loopsILj256ELj2ElDF16_DF16_ffEEvlNS_24const_host_device_scalarIT5_EEPKT1_S6_PKT2_PKT3_PT4_21rocsparse_index_base_b.has_indirect_call, 0
	.section	.AMDGPU.csdata,"",@progbits
; Kernel info:
; codeLenInByte = 2688
; TotalNumSgprs: 28
; NumVgprs: 22
; ScratchSize: 0
; MemoryBound: 0
; FloatMode: 240
; IeeeMode: 1
; LDSByteSize: 3072 bytes/workgroup (compile time only)
; SGPRBlocks: 0
; VGPRBlocks: 1
; NumSGPRsForWavesPerEU: 28
; NumVGPRsForWavesPerEU: 22
; NamedBarCnt: 0
; Occupancy: 16
; WaveLimiterHint : 1
; COMPUTE_PGM_RSRC2:SCRATCH_EN: 0
; COMPUTE_PGM_RSRC2:USER_SGPR: 2
; COMPUTE_PGM_RSRC2:TRAP_HANDLER: 0
; COMPUTE_PGM_RSRC2:TGID_X_EN: 1
; COMPUTE_PGM_RSRC2:TGID_Y_EN: 0
; COMPUTE_PGM_RSRC2:TGID_Z_EN: 0
; COMPUTE_PGM_RSRC2:TIDIG_COMP_CNT: 0
	.section	.text._ZN9rocsparseL22coomvn_segmented_loopsILj256Ei18rocsparse_bfloat16S1_ffEEvlT0_NS_24const_host_device_scalarIT4_EEPKS2_S7_PKT1_PKT2_PT3_PS2_PS4_21rocsparse_index_base_b,"axG",@progbits,_ZN9rocsparseL22coomvn_segmented_loopsILj256Ei18rocsparse_bfloat16S1_ffEEvlT0_NS_24const_host_device_scalarIT4_EEPKS2_S7_PKT1_PKT2_PT3_PS2_PS4_21rocsparse_index_base_b,comdat
	.globl	_ZN9rocsparseL22coomvn_segmented_loopsILj256Ei18rocsparse_bfloat16S1_ffEEvlT0_NS_24const_host_device_scalarIT4_EEPKS2_S7_PKT1_PKT2_PT3_PS2_PS4_21rocsparse_index_base_b ; -- Begin function _ZN9rocsparseL22coomvn_segmented_loopsILj256Ei18rocsparse_bfloat16S1_ffEEvlT0_NS_24const_host_device_scalarIT4_EEPKS2_S7_PKT1_PKT2_PT3_PS2_PS4_21rocsparse_index_base_b
	.p2align	8
	.type	_ZN9rocsparseL22coomvn_segmented_loopsILj256Ei18rocsparse_bfloat16S1_ffEEvlT0_NS_24const_host_device_scalarIT4_EEPKS2_S7_PKT1_PKT2_PT3_PS2_PS4_21rocsparse_index_base_b,@function
_ZN9rocsparseL22coomvn_segmented_loopsILj256Ei18rocsparse_bfloat16S1_ffEEvlT0_NS_24const_host_device_scalarIT4_EEPKS2_S7_PKT1_PKT2_PT3_PS2_PS4_21rocsparse_index_base_b: ; @_ZN9rocsparseL22coomvn_segmented_loopsILj256Ei18rocsparse_bfloat16S1_ffEEvlT0_NS_24const_host_device_scalarIT4_EEPKS2_S7_PKT1_PKT2_PT3_PS2_PS4_21rocsparse_index_base_b
; %bb.0:
	s_clause 0x1
	s_load_b64 s[30:31], s[0:1], 0x50
	s_load_b64 s[28:29], s[0:1], 0x10
	s_wait_kmcnt 0x0
	s_bitcmp1_b32 s31, 0
	s_cselect_b32 s2, -1, 0
	s_delay_alu instid0(SALU_CYCLE_1)
	s_and_b32 vcc_lo, exec_lo, s2
	s_cbranch_vccnz .LBB68_2
; %bb.1:
	s_load_b32 s28, s[28:29], 0x0
.LBB68_2:
	s_wait_kmcnt 0x0
	s_cmp_eq_f32 s28, 0
	s_cbranch_scc1 .LBB68_89
; %bb.3:
	s_clause 0x1
	s_load_b96 s[24:26], s[0:1], 0x0
	s_load_b256 s[16:23], s[0:1], 0x18
	s_bfe_u32 s2, ttmp6, 0x4000c
	s_and_b32 s3, ttmp6, 15
	s_add_co_i32 s2, s2, 1
	s_getreg_b32 s4, hwreg(HW_REG_IB_STS2, 6, 4)
	s_mul_i32 s2, ttmp9, s2
	v_dual_mov_b32 v3, 0 :: v_dual_mov_b32 v12, -1
	s_add_co_i32 s3, s3, s2
	s_cmp_eq_u32 s4, 0
	s_cselect_b32 s27, ttmp9, s3
	s_delay_alu instid0(VALU_DEP_1) | instskip(SKIP_2) | instid1(SALU_CYCLE_1)
	v_mov_b32_e32 v13, v3
	s_wait_kmcnt 0x0
	s_mul_i32 s2, s27, s26
	v_lshl_or_b32 v2, s2, 8, v0
	s_mov_b32 s2, exec_lo
	s_delay_alu instid0(VALU_DEP_1)
	v_lshl_add_u64 v[4:5], v[2:3], 1, s[20:21]
	v_cmpx_gt_i64_e64 s[24:25], v[2:3]
	s_cbranch_execz .LBB68_5
; %bb.4:
	v_lshlrev_b64_e32 v[6:7], 2, v[2:3]
	s_ashr_i32 s31, s30, 31
	s_delay_alu instid0(SALU_CYCLE_1) | instskip(NEXT) | instid1(VALU_DEP_1)
	s_lshl_b64 s[4:5], s[30:31], 1
	v_add_nc_u64_e32 v[8:9], s[18:19], v[6:7]
	v_add_nc_u64_e32 v[6:7], s[16:17], v[6:7]
	global_load_b32 v8, v[8:9], off th:TH_LOAD_NT
	s_wait_loadcnt 0x0
	v_ashrrev_i32_e32 v9, 31, v8
	s_delay_alu instid0(VALU_DEP_1) | instskip(NEXT) | instid1(VALU_DEP_1)
	v_lshl_add_u64 v[8:9], v[8:9], 1, s[22:23]
	v_sub_nc_u64_e64 v[8:9], v[8:9], s[4:5]
	global_load_u16 v1, v[4:5], off
	global_load_u16 v10, v[8:9], off
	global_load_b32 v11, v[6:7], off th:TH_LOAD_NT
	s_wait_loadcnt 0x1
	s_wait_xcnt 0x0
	v_dual_lshlrev_b32 v1, 16, v1 :: v_dual_lshlrev_b32 v6, 16, v10
	s_wait_loadcnt 0x0
	v_subrev_nc_u32_e32 v12, s30, v11
	s_delay_alu instid0(VALU_DEP_2)
	v_mul_f32_e32 v13, v6, v1
.LBB68_5:
	s_or_b32 exec_lo, exec_lo, s2
	v_lshlrev_b32_e32 v1, 2, v0
	v_cmp_eq_u32_e64 s2, 0, v0
	v_cmp_ne_u32_e64 s3, 0, v0
	s_delay_alu instid0(VALU_DEP_3)
	v_or_b32_e32 v10, 0x400, v1
	v_add_nc_u32_e32 v11, -4, v1
	ds_store_2addr_stride64_b32 v1, v12, v13 offset1:4
	s_wait_dscnt 0x0
	s_barrier_signal -1
	s_barrier_wait -1
	s_and_saveexec_b32 s4, s3
	s_cbranch_execz .LBB68_9
; %bb.6:
	ds_load_b32 v6, v11
	s_mov_b32 s5, exec_lo
	s_wait_dscnt 0x0
	v_cmpx_eq_u32_e64 v12, v6
	s_cbranch_execz .LBB68_8
; %bb.7:
	v_add_nc_u32_e32 v6, -4, v10
	ds_load_b32 v6, v6
	s_wait_dscnt 0x0
	v_add_f32_e32 v13, v13, v6
.LBB68_8:
	s_or_b32 exec_lo, exec_lo, s5
.LBB68_9:
	s_delay_alu instid0(SALU_CYCLE_1)
	s_or_b32 exec_lo, exec_lo, s4
	v_cmp_lt_u32_e64 s4, 1, v0
	v_add_nc_u32_e32 v14, -8, v1
	s_barrier_signal -1
	s_barrier_wait -1
	ds_store_b32 v10, v13
	s_wait_dscnt 0x0
	s_barrier_signal -1
	s_barrier_wait -1
	s_and_saveexec_b32 s5, s4
	s_cbranch_execz .LBB68_13
; %bb.10:
	ds_load_b32 v6, v14
	s_mov_b32 s6, exec_lo
	s_wait_dscnt 0x0
	v_cmpx_eq_u32_e64 v12, v6
	s_cbranch_execz .LBB68_12
; %bb.11:
	v_add_nc_u32_e32 v6, -8, v10
	ds_load_b32 v6, v6
	s_wait_dscnt 0x0
	v_add_f32_e32 v13, v13, v6
.LBB68_12:
	s_or_b32 exec_lo, exec_lo, s6
.LBB68_13:
	s_delay_alu instid0(SALU_CYCLE_1)
	s_or_b32 exec_lo, exec_lo, s5
	v_cmp_lt_u32_e64 s5, 3, v0
	v_add_nc_u32_e32 v15, -16, v1
	s_barrier_signal -1
	s_barrier_wait -1
	ds_store_b32 v10, v13
	s_wait_dscnt 0x0
	s_barrier_signal -1
	s_barrier_wait -1
	s_and_saveexec_b32 s6, s5
	s_cbranch_execz .LBB68_17
; %bb.14:
	ds_load_b32 v6, v15
	s_mov_b32 s7, exec_lo
	s_wait_dscnt 0x0
	v_cmpx_eq_u32_e64 v12, v6
	s_cbranch_execz .LBB68_16
; %bb.15:
	v_add_nc_u32_e32 v6, -16, v10
	ds_load_b32 v6, v6
	s_wait_dscnt 0x0
	v_add_f32_e32 v13, v13, v6
.LBB68_16:
	s_or_b32 exec_lo, exec_lo, s7
.LBB68_17:
	s_delay_alu instid0(SALU_CYCLE_1)
	s_or_b32 exec_lo, exec_lo, s6
	v_cmp_lt_u32_e64 s6, 7, v0
	v_subrev_nc_u32_e32 v16, 32, v1
	s_barrier_signal -1
	s_barrier_wait -1
	ds_store_b32 v10, v13
	s_wait_dscnt 0x0
	s_barrier_signal -1
	s_barrier_wait -1
	s_and_saveexec_b32 s7, s6
	s_cbranch_execz .LBB68_21
; %bb.18:
	ds_load_b32 v6, v16
	s_mov_b32 s8, exec_lo
	s_wait_dscnt 0x0
	v_cmpx_eq_u32_e64 v12, v6
	s_cbranch_execz .LBB68_20
; %bb.19:
	v_subrev_nc_u32_e32 v6, 32, v10
	ds_load_b32 v6, v6
	s_wait_dscnt 0x0
	v_add_f32_e32 v13, v13, v6
.LBB68_20:
	s_or_b32 exec_lo, exec_lo, s8
.LBB68_21:
	s_delay_alu instid0(SALU_CYCLE_1)
	s_or_b32 exec_lo, exec_lo, s7
	v_cmp_lt_u32_e64 s7, 15, v0
	v_subrev_nc_u32_e32 v17, 64, v1
	s_barrier_signal -1
	s_barrier_wait -1
	ds_store_b32 v10, v13
	s_wait_dscnt 0x0
	s_barrier_signal -1
	s_barrier_wait -1
	s_and_saveexec_b32 s8, s7
	s_cbranch_execz .LBB68_25
; %bb.22:
	ds_load_b32 v6, v17
	s_mov_b32 s9, exec_lo
	s_wait_dscnt 0x0
	v_cmpx_eq_u32_e64 v12, v6
	s_cbranch_execz .LBB68_24
; %bb.23:
	v_subrev_nc_u32_e32 v6, 64, v10
	ds_load_b32 v6, v6
	s_wait_dscnt 0x0
	v_add_f32_e32 v13, v13, v6
.LBB68_24:
	s_or_b32 exec_lo, exec_lo, s9
.LBB68_25:
	s_delay_alu instid0(SALU_CYCLE_1)
	s_or_b32 exec_lo, exec_lo, s8
	v_cmp_lt_u32_e64 s8, 31, v0
	v_add_nc_u32_e32 v18, 0xffffff80, v1
	s_barrier_signal -1
	s_barrier_wait -1
	ds_store_b32 v10, v13
	s_wait_dscnt 0x0
	s_barrier_signal -1
	s_barrier_wait -1
	s_and_saveexec_b32 s9, s8
	s_cbranch_execz .LBB68_29
; %bb.26:
	ds_load_b32 v6, v18
	s_mov_b32 s10, exec_lo
	s_wait_dscnt 0x0
	v_cmpx_eq_u32_e64 v12, v6
	s_cbranch_execz .LBB68_28
; %bb.27:
	v_add_nc_u32_e32 v6, 0xffffff80, v10
	ds_load_b32 v6, v6
	s_wait_dscnt 0x0
	v_add_f32_e32 v13, v13, v6
.LBB68_28:
	s_or_b32 exec_lo, exec_lo, s10
.LBB68_29:
	s_delay_alu instid0(SALU_CYCLE_1)
	s_or_b32 exec_lo, exec_lo, s9
	v_cmp_lt_u32_e64 s9, 63, v0
	v_add_nc_u32_e32 v19, 0xffffff00, v1
	s_barrier_signal -1
	s_barrier_wait -1
	ds_store_b32 v10, v13
	s_wait_dscnt 0x0
	s_barrier_signal -1
	s_barrier_wait -1
	s_and_saveexec_b32 s10, s9
	s_cbranch_execz .LBB68_33
; %bb.30:
	ds_load_b32 v6, v19
	s_mov_b32 s11, exec_lo
	s_wait_dscnt 0x0
	v_cmpx_eq_u32_e64 v12, v6
	s_cbranch_execz .LBB68_32
; %bb.31:
	v_add_nc_u32_e32 v6, 0xffffff00, v10
	ds_load_b32 v6, v6
	s_wait_dscnt 0x0
	v_add_f32_e32 v13, v13, v6
.LBB68_32:
	s_or_b32 exec_lo, exec_lo, s11
.LBB68_33:
	s_delay_alu instid0(SALU_CYCLE_1)
	s_or_b32 exec_lo, exec_lo, s10
	s_load_b64 s[20:21], s[0:1], 0x38
	v_cmp_lt_u32_e64 s10, 0x7f, v0
	v_add_nc_u32_e32 v20, 0xfffffe00, v1
	s_barrier_signal -1
	s_barrier_wait -1
	ds_store_b32 v10, v13
	s_wait_dscnt 0x0
	s_barrier_signal -1
	s_barrier_wait -1
	s_and_saveexec_b32 s11, s10
	s_cbranch_execz .LBB68_37
; %bb.34:
	ds_load_b32 v6, v20
	s_mov_b32 s12, exec_lo
	s_wait_dscnt 0x0
	v_cmpx_eq_u32_e64 v12, v6
	s_cbranch_execz .LBB68_36
; %bb.35:
	v_add_nc_u32_e32 v6, 0xfffffe00, v10
	ds_load_b32 v6, v6
	s_wait_dscnt 0x0
	v_add_f32_e32 v13, v13, v6
.LBB68_36:
	s_or_b32 exec_lo, exec_lo, s12
.LBB68_37:
	s_delay_alu instid0(SALU_CYCLE_1)
	s_or_b32 exec_lo, exec_lo, s11
	v_cmp_gt_u32_e64 s11, 0xff, v0
	s_barrier_signal -1
	s_barrier_wait -1
	ds_store_b32 v10, v13
	s_wait_dscnt 0x0
	s_barrier_signal -1
	s_barrier_wait -1
	s_and_saveexec_b32 s13, s11
	s_cbranch_execz .LBB68_40
; %bb.38:
	ds_load_b32 v6, v1 offset:4
	v_cmp_lt_i32_e64 s12, -1, v12
	s_wait_dscnt 0x0
	v_cmp_ne_u32_e32 vcc_lo, v12, v6
	s_and_b32 s12, s12, vcc_lo
	s_delay_alu instid0(SALU_CYCLE_1)
	s_and_b32 exec_lo, exec_lo, s12
	s_cbranch_execz .LBB68_40
; %bb.39:
	s_wait_kmcnt 0x0
	global_load_b32 v6, v12, s[20:21] scale_offset
	s_wait_loadcnt 0x0
	v_fmac_f32_e32 v6, s28, v13
	global_store_b32 v12, v6, s[20:21] scale_offset
.LBB68_40:
	s_wait_xcnt 0x0
	s_or_b32 exec_lo, exec_lo, s13
	s_load_b128 s[12:15], s[0:1], 0x40
	s_cmp_lt_i32 s26, 2
	s_cbranch_scc1 .LBB68_87
; %bb.41:
	v_lshl_add_u64 v[8:9], v[2:3], 2, 0x400
	v_add_nc_u64_e32 v[4:5], 0x200, v[4:5]
	v_add_nc_u64_e32 v[2:3], 0x100, v[2:3]
	s_ashr_i32 s31, s30, 31
	v_dual_add_nc_u32 v21, -4, v10 :: v_dual_add_nc_u32 v22, -8, v10
	v_add_nc_u64_e32 v[6:7], s[18:19], v[8:9]
	v_add_nc_u64_e32 v[8:9], s[16:17], v[8:9]
	v_dual_add_nc_u32 v23, -16, v10 :: v_dual_mov_b32 v29, 0
	v_subrev_nc_u32_e32 v24, 32, v10
	v_subrev_nc_u32_e32 v25, 64, v10
	v_add_nc_u32_e32 v26, 0xffffff80, v10
	v_add_nc_u32_e32 v27, 0xffffff00, v10
	;; [unrolled: 1-line block ×3, first 2 shown]
	s_wait_xcnt 0x0
	s_lshl_b64 s[0:1], s[30:31], 1
	s_delay_alu instid0(SALU_CYCLE_1)
	s_sub_nc_u64 s[16:17], s[22:23], s[0:1]
	s_add_co_i32 s1, s26, -1
	s_branch .LBB68_43
.LBB68_42:                              ;   in Loop: Header=BB68_43 Depth=1
	s_wait_xcnt 0x0
	s_or_b32 exec_lo, exec_lo, s18
	v_add_nc_u64_e32 v[6:7], 0x400, v[6:7]
	v_add_nc_u64_e32 v[4:5], 0x200, v[4:5]
	v_add_nc_u64_e32 v[8:9], 0x400, v[8:9]
	v_add_nc_u64_e32 v[2:3], 0x100, v[2:3]
	s_add_co_i32 s1, s1, -1
	s_delay_alu instid0(SALU_CYCLE_1)
	s_cmp_eq_u32 s1, 0
	s_cbranch_scc1 .LBB68_87
.LBB68_43:                              ; =>This Inner Loop Header: Depth=1
	v_dual_mov_b32 v12, -1 :: v_dual_mov_b32 v13, 0
	s_mov_b32 s0, exec_lo
	s_delay_alu instid0(VALU_DEP_2)
	v_cmpx_gt_i64_e64 s[24:25], v[2:3]
	s_cbranch_execz .LBB68_45
; %bb.44:                               ;   in Loop: Header=BB68_43 Depth=1
	global_load_b32 v12, v[6:7], off th:TH_LOAD_NT
	global_load_u16 v13, v[4:5], off
	s_wait_loadcnt 0x1
	global_load_u16 v30, v12, s[16:17] scale_offset
	global_load_b32 v31, v[8:9], off th:TH_LOAD_NT
	s_wait_loadcnt 0x1
	v_dual_lshlrev_b32 v13, 16, v13 :: v_dual_lshlrev_b32 v30, 16, v30
	s_wait_loadcnt 0x0
	s_wait_xcnt 0x1
	v_subrev_nc_u32_e32 v12, s30, v31
	s_delay_alu instid0(VALU_DEP_2)
	v_mul_f32_e32 v13, v30, v13
.LBB68_45:                              ;   in Loop: Header=BB68_43 Depth=1
	s_wait_xcnt 0x0
	s_or_b32 exec_lo, exec_lo, s0
	s_and_saveexec_b32 s0, s2
	s_cbranch_execz .LBB68_52
; %bb.46:                               ;   in Loop: Header=BB68_43 Depth=1
	ds_load_b32 v30, v29 offset:1020
	s_mov_b32 s18, exec_lo
	s_wait_dscnt 0x0
	v_cmpx_ne_u32_e64 v12, v30
	s_xor_b32 s18, exec_lo, s18
	s_cbranch_execz .LBB68_49
; %bb.47:                               ;   in Loop: Header=BB68_43 Depth=1
	v_cmp_gt_i32_e32 vcc_lo, 0, v30
	s_cbranch_vccnz .LBB68_49
; %bb.48:                               ;   in Loop: Header=BB68_43 Depth=1
	s_wait_kmcnt 0x0
	global_load_b32 v31, v30, s[20:21] scale_offset
	ds_load_b32 v32, v29 offset:2044
	s_wait_loadcnt_dscnt 0x0
	v_fmac_f32_e32 v31, s28, v32
	global_store_b32 v30, v31, s[20:21] scale_offset
.LBB68_49:                              ;   in Loop: Header=BB68_43 Depth=1
	s_wait_xcnt 0x0
	s_and_not1_saveexec_b32 s18, s18
	s_cbranch_execz .LBB68_51
; %bb.50:                               ;   in Loop: Header=BB68_43 Depth=1
	ds_load_b32 v30, v29 offset:2044
	s_wait_dscnt 0x0
	v_add_f32_e32 v13, v13, v30
.LBB68_51:                              ;   in Loop: Header=BB68_43 Depth=1
	s_or_b32 exec_lo, exec_lo, s18
.LBB68_52:                              ;   in Loop: Header=BB68_43 Depth=1
	s_delay_alu instid0(SALU_CYCLE_1)
	s_or_b32 exec_lo, exec_lo, s0
	s_wait_storecnt 0x0
	s_barrier_signal -1
	s_barrier_wait -1
	ds_store_b32 v1, v12
	ds_store_b32 v10, v13
	s_wait_dscnt 0x0
	s_barrier_signal -1
	s_barrier_wait -1
	s_and_saveexec_b32 s0, s3
	s_cbranch_execz .LBB68_56
; %bb.53:                               ;   in Loop: Header=BB68_43 Depth=1
	ds_load_b32 v30, v11
	s_mov_b32 s18, exec_lo
	s_wait_dscnt 0x0
	v_cmpx_eq_u32_e64 v12, v30
	s_cbranch_execz .LBB68_55
; %bb.54:                               ;   in Loop: Header=BB68_43 Depth=1
	ds_load_b32 v30, v21
	s_wait_dscnt 0x0
	v_add_f32_e32 v13, v13, v30
.LBB68_55:                              ;   in Loop: Header=BB68_43 Depth=1
	s_or_b32 exec_lo, exec_lo, s18
.LBB68_56:                              ;   in Loop: Header=BB68_43 Depth=1
	s_delay_alu instid0(SALU_CYCLE_1)
	s_or_b32 exec_lo, exec_lo, s0
	s_barrier_signal -1
	s_barrier_wait -1
	ds_store_b32 v10, v13
	s_wait_dscnt 0x0
	s_barrier_signal -1
	s_barrier_wait -1
	s_and_saveexec_b32 s0, s4
	s_cbranch_execz .LBB68_60
; %bb.57:                               ;   in Loop: Header=BB68_43 Depth=1
	ds_load_b32 v30, v14
	s_mov_b32 s18, exec_lo
	s_wait_dscnt 0x0
	v_cmpx_eq_u32_e64 v12, v30
	s_cbranch_execz .LBB68_59
; %bb.58:                               ;   in Loop: Header=BB68_43 Depth=1
	ds_load_b32 v30, v22
	s_wait_dscnt 0x0
	v_add_f32_e32 v13, v13, v30
.LBB68_59:                              ;   in Loop: Header=BB68_43 Depth=1
	s_or_b32 exec_lo, exec_lo, s18
.LBB68_60:                              ;   in Loop: Header=BB68_43 Depth=1
	s_delay_alu instid0(SALU_CYCLE_1)
	s_or_b32 exec_lo, exec_lo, s0
	s_barrier_signal -1
	s_barrier_wait -1
	;; [unrolled: 23-line block ×8, first 2 shown]
	ds_store_b32 v10, v13
	s_wait_dscnt 0x0
	s_barrier_signal -1
	s_barrier_wait -1
	s_and_saveexec_b32 s18, s11
	s_cbranch_execz .LBB68_42
; %bb.85:                               ;   in Loop: Header=BB68_43 Depth=1
	ds_load_b32 v30, v1 offset:4
	v_cmp_lt_i32_e64 s0, -1, v12
	s_wait_dscnt 0x0
	v_cmp_ne_u32_e32 vcc_lo, v12, v30
	s_and_b32 s0, s0, vcc_lo
	s_delay_alu instid0(SALU_CYCLE_1)
	s_and_b32 exec_lo, exec_lo, s0
	s_cbranch_execz .LBB68_42
; %bb.86:                               ;   in Loop: Header=BB68_43 Depth=1
	s_wait_kmcnt 0x0
	global_load_b32 v30, v12, s[20:21] scale_offset
	s_wait_loadcnt 0x0
	v_fmac_f32_e32 v30, s28, v13
	global_store_b32 v12, v30, s[20:21] scale_offset
	s_branch .LBB68_42
.LBB68_87:
	s_wait_xcnt 0x0
	s_mov_b32 s0, exec_lo
	v_cmpx_eq_u32_e32 0xff, v0
	s_cbranch_execz .LBB68_89
; %bb.88:
	v_dual_mov_b32 v0, s27 :: v_dual_mul_f32 v1, s28, v13
	s_wait_kmcnt 0x0
	s_clause 0x1
	global_store_b32 v0, v12, s[12:13] scale_offset th:TH_STORE_NT
	global_store_b32 v0, v1, s[14:15] scale_offset th:TH_STORE_NT
.LBB68_89:
	s_endpgm
	.section	.rodata,"a",@progbits
	.p2align	6, 0x0
	.amdhsa_kernel _ZN9rocsparseL22coomvn_segmented_loopsILj256Ei18rocsparse_bfloat16S1_ffEEvlT0_NS_24const_host_device_scalarIT4_EEPKS2_S7_PKT1_PKT2_PT3_PS2_PS4_21rocsparse_index_base_b
		.amdhsa_group_segment_fixed_size 2048
		.amdhsa_private_segment_fixed_size 0
		.amdhsa_kernarg_size 88
		.amdhsa_user_sgpr_count 2
		.amdhsa_user_sgpr_dispatch_ptr 0
		.amdhsa_user_sgpr_queue_ptr 0
		.amdhsa_user_sgpr_kernarg_segment_ptr 1
		.amdhsa_user_sgpr_dispatch_id 0
		.amdhsa_user_sgpr_kernarg_preload_length 0
		.amdhsa_user_sgpr_kernarg_preload_offset 0
		.amdhsa_user_sgpr_private_segment_size 0
		.amdhsa_wavefront_size32 1
		.amdhsa_uses_dynamic_stack 0
		.amdhsa_enable_private_segment 0
		.amdhsa_system_sgpr_workgroup_id_x 1
		.amdhsa_system_sgpr_workgroup_id_y 0
		.amdhsa_system_sgpr_workgroup_id_z 0
		.amdhsa_system_sgpr_workgroup_info 0
		.amdhsa_system_vgpr_workitem_id 0
		.amdhsa_next_free_vgpr 33
		.amdhsa_next_free_sgpr 32
		.amdhsa_named_barrier_count 0
		.amdhsa_reserve_vcc 1
		.amdhsa_float_round_mode_32 0
		.amdhsa_float_round_mode_16_64 0
		.amdhsa_float_denorm_mode_32 3
		.amdhsa_float_denorm_mode_16_64 3
		.amdhsa_fp16_overflow 0
		.amdhsa_memory_ordered 1
		.amdhsa_forward_progress 1
		.amdhsa_inst_pref_size 22
		.amdhsa_round_robin_scheduling 0
		.amdhsa_exception_fp_ieee_invalid_op 0
		.amdhsa_exception_fp_denorm_src 0
		.amdhsa_exception_fp_ieee_div_zero 0
		.amdhsa_exception_fp_ieee_overflow 0
		.amdhsa_exception_fp_ieee_underflow 0
		.amdhsa_exception_fp_ieee_inexact 0
		.amdhsa_exception_int_div_zero 0
	.end_amdhsa_kernel
	.section	.text._ZN9rocsparseL22coomvn_segmented_loopsILj256Ei18rocsparse_bfloat16S1_ffEEvlT0_NS_24const_host_device_scalarIT4_EEPKS2_S7_PKT1_PKT2_PT3_PS2_PS4_21rocsparse_index_base_b,"axG",@progbits,_ZN9rocsparseL22coomvn_segmented_loopsILj256Ei18rocsparse_bfloat16S1_ffEEvlT0_NS_24const_host_device_scalarIT4_EEPKS2_S7_PKT1_PKT2_PT3_PS2_PS4_21rocsparse_index_base_b,comdat
.Lfunc_end68:
	.size	_ZN9rocsparseL22coomvn_segmented_loopsILj256Ei18rocsparse_bfloat16S1_ffEEvlT0_NS_24const_host_device_scalarIT4_EEPKS2_S7_PKT1_PKT2_PT3_PS2_PS4_21rocsparse_index_base_b, .Lfunc_end68-_ZN9rocsparseL22coomvn_segmented_loopsILj256Ei18rocsparse_bfloat16S1_ffEEvlT0_NS_24const_host_device_scalarIT4_EEPKS2_S7_PKT1_PKT2_PT3_PS2_PS4_21rocsparse_index_base_b
                                        ; -- End function
	.set _ZN9rocsparseL22coomvn_segmented_loopsILj256Ei18rocsparse_bfloat16S1_ffEEvlT0_NS_24const_host_device_scalarIT4_EEPKS2_S7_PKT1_PKT2_PT3_PS2_PS4_21rocsparse_index_base_b.num_vgpr, 33
	.set _ZN9rocsparseL22coomvn_segmented_loopsILj256Ei18rocsparse_bfloat16S1_ffEEvlT0_NS_24const_host_device_scalarIT4_EEPKS2_S7_PKT1_PKT2_PT3_PS2_PS4_21rocsparse_index_base_b.num_agpr, 0
	.set _ZN9rocsparseL22coomvn_segmented_loopsILj256Ei18rocsparse_bfloat16S1_ffEEvlT0_NS_24const_host_device_scalarIT4_EEPKS2_S7_PKT1_PKT2_PT3_PS2_PS4_21rocsparse_index_base_b.numbered_sgpr, 32
	.set _ZN9rocsparseL22coomvn_segmented_loopsILj256Ei18rocsparse_bfloat16S1_ffEEvlT0_NS_24const_host_device_scalarIT4_EEPKS2_S7_PKT1_PKT2_PT3_PS2_PS4_21rocsparse_index_base_b.num_named_barrier, 0
	.set _ZN9rocsparseL22coomvn_segmented_loopsILj256Ei18rocsparse_bfloat16S1_ffEEvlT0_NS_24const_host_device_scalarIT4_EEPKS2_S7_PKT1_PKT2_PT3_PS2_PS4_21rocsparse_index_base_b.private_seg_size, 0
	.set _ZN9rocsparseL22coomvn_segmented_loopsILj256Ei18rocsparse_bfloat16S1_ffEEvlT0_NS_24const_host_device_scalarIT4_EEPKS2_S7_PKT1_PKT2_PT3_PS2_PS4_21rocsparse_index_base_b.uses_vcc, 1
	.set _ZN9rocsparseL22coomvn_segmented_loopsILj256Ei18rocsparse_bfloat16S1_ffEEvlT0_NS_24const_host_device_scalarIT4_EEPKS2_S7_PKT1_PKT2_PT3_PS2_PS4_21rocsparse_index_base_b.uses_flat_scratch, 0
	.set _ZN9rocsparseL22coomvn_segmented_loopsILj256Ei18rocsparse_bfloat16S1_ffEEvlT0_NS_24const_host_device_scalarIT4_EEPKS2_S7_PKT1_PKT2_PT3_PS2_PS4_21rocsparse_index_base_b.has_dyn_sized_stack, 0
	.set _ZN9rocsparseL22coomvn_segmented_loopsILj256Ei18rocsparse_bfloat16S1_ffEEvlT0_NS_24const_host_device_scalarIT4_EEPKS2_S7_PKT1_PKT2_PT3_PS2_PS4_21rocsparse_index_base_b.has_recursion, 0
	.set _ZN9rocsparseL22coomvn_segmented_loopsILj256Ei18rocsparse_bfloat16S1_ffEEvlT0_NS_24const_host_device_scalarIT4_EEPKS2_S7_PKT1_PKT2_PT3_PS2_PS4_21rocsparse_index_base_b.has_indirect_call, 0
	.section	.AMDGPU.csdata,"",@progbits
; Kernel info:
; codeLenInByte = 2744
; TotalNumSgprs: 34
; NumVgprs: 33
; ScratchSize: 0
; MemoryBound: 0
; FloatMode: 240
; IeeeMode: 1
; LDSByteSize: 2048 bytes/workgroup (compile time only)
; SGPRBlocks: 0
; VGPRBlocks: 2
; NumSGPRsForWavesPerEU: 34
; NumVGPRsForWavesPerEU: 33
; NamedBarCnt: 0
; Occupancy: 16
; WaveLimiterHint : 1
; COMPUTE_PGM_RSRC2:SCRATCH_EN: 0
; COMPUTE_PGM_RSRC2:USER_SGPR: 2
; COMPUTE_PGM_RSRC2:TRAP_HANDLER: 0
; COMPUTE_PGM_RSRC2:TGID_X_EN: 1
; COMPUTE_PGM_RSRC2:TGID_Y_EN: 0
; COMPUTE_PGM_RSRC2:TGID_Z_EN: 0
; COMPUTE_PGM_RSRC2:TIDIG_COMP_CNT: 0
	.section	.text._ZN9rocsparseL13coomvt_kernelILj1024Ei18rocsparse_bfloat16S1_ffEEv20rocsparse_operation_lNS_24const_host_device_scalarIT4_EEPKT0_S8_PKT1_PKT2_PT3_21rocsparse_index_base_b,"axG",@progbits,_ZN9rocsparseL13coomvt_kernelILj1024Ei18rocsparse_bfloat16S1_ffEEv20rocsparse_operation_lNS_24const_host_device_scalarIT4_EEPKT0_S8_PKT1_PKT2_PT3_21rocsparse_index_base_b,comdat
	.globl	_ZN9rocsparseL13coomvt_kernelILj1024Ei18rocsparse_bfloat16S1_ffEEv20rocsparse_operation_lNS_24const_host_device_scalarIT4_EEPKT0_S8_PKT1_PKT2_PT3_21rocsparse_index_base_b ; -- Begin function _ZN9rocsparseL13coomvt_kernelILj1024Ei18rocsparse_bfloat16S1_ffEEv20rocsparse_operation_lNS_24const_host_device_scalarIT4_EEPKT0_S8_PKT1_PKT2_PT3_21rocsparse_index_base_b
	.p2align	8
	.type	_ZN9rocsparseL13coomvt_kernelILj1024Ei18rocsparse_bfloat16S1_ffEEv20rocsparse_operation_lNS_24const_host_device_scalarIT4_EEPKT0_S8_PKT1_PKT2_PT3_21rocsparse_index_base_b,@function
_ZN9rocsparseL13coomvt_kernelILj1024Ei18rocsparse_bfloat16S1_ffEEv20rocsparse_operation_lNS_24const_host_device_scalarIT4_EEPKT0_S8_PKT1_PKT2_PT3_21rocsparse_index_base_b: ; @_ZN9rocsparseL13coomvt_kernelILj1024Ei18rocsparse_bfloat16S1_ffEEv20rocsparse_operation_lNS_24const_host_device_scalarIT4_EEPKT0_S8_PKT1_PKT2_PT3_21rocsparse_index_base_b
; %bb.0:
	s_clause 0x1
	s_load_b64 s[2:3], s[0:1], 0x40
	s_load_b128 s[4:7], s[0:1], 0x8
	s_wait_kmcnt 0x0
	s_bitcmp1_b32 s3, 0
	s_cselect_b32 s3, -1, 0
	s_delay_alu instid0(SALU_CYCLE_1)
	s_and_b32 vcc_lo, exec_lo, s3
	s_cbranch_vccnz .LBB69_2
; %bb.1:
	s_load_b32 s6, s[6:7], 0x0
.LBB69_2:
	s_wait_kmcnt 0x0
	s_cmp_eq_f32 s6, 0
	s_cbranch_scc1 .LBB69_5
; %bb.3:
	s_load_b32 s3, s[0:1], 0x54
	s_bfe_u32 s7, ttmp6, 0x4000c
	s_and_b32 s8, ttmp6, 15
	s_add_co_i32 s7, s7, 1
	s_getreg_b32 s9, hwreg(HW_REG_IB_STS2, 6, 4)
	s_mul_i32 s7, ttmp9, s7
	v_mov_b32_e32 v1, 0
	s_add_co_i32 s8, s8, s7
	s_wait_kmcnt 0x0
	s_and_b32 s3, s3, 0xffff
	s_cmp_eq_u32 s9, 0
	s_cselect_b32 s7, ttmp9, s8
	s_delay_alu instid0(SALU_CYCLE_1) | instskip(SKIP_1) | instid1(VALU_DEP_1)
	v_mad_u32 v0, s7, s3, v0
	s_mov_b32 s3, exec_lo
	v_cmpx_gt_i64_e64 s[4:5], v[0:1]
	s_cbranch_execz .LBB69_5
; %bb.4:
	s_load_b256 s[8:15], s[0:1], 0x18
	v_lshlrev_b64_e32 v[2:3], 2, v[0:1]
	s_wait_xcnt 0x0
	s_load_b64 s[0:1], s[0:1], 0x38
	s_wait_kmcnt 0x0
	s_delay_alu instid0(VALU_DEP_1)
	v_add_nc_u64_e32 v[4:5], s[8:9], v[2:3]
	v_lshl_add_u64 v[0:1], v[0:1], 1, s[12:13]
	global_load_b32 v4, v[4:5], off
	global_load_u16 v5, v[0:1], off
	s_wait_xcnt 0x0
	v_add_nc_u64_e32 v[0:1], s[10:11], v[2:3]
	s_wait_loadcnt 0x1
	v_subrev_nc_u32_e32 v4, s2, v4
	global_load_u16 v2, v4, s[14:15] scale_offset
	global_load_b32 v3, v[0:1], off
	s_wait_loadcnt 0x1
	s_wait_xcnt 0x0
	v_dual_lshlrev_b32 v0, 16, v5 :: v_dual_lshlrev_b32 v1, 16, v2
	s_delay_alu instid0(VALU_DEP_1) | instskip(SKIP_2) | instid1(VALU_DEP_2)
	v_mul_f32_e32 v0, s6, v0
	s_wait_loadcnt 0x0
	v_subrev_nc_u32_e32 v2, s2, v3
	v_mul_f32_e32 v0, v0, v1
	global_atomic_add_f32 v2, v0, s[0:1] scale_offset scope:SCOPE_DEV
.LBB69_5:
	s_endpgm
	.section	.rodata,"a",@progbits
	.p2align	6, 0x0
	.amdhsa_kernel _ZN9rocsparseL13coomvt_kernelILj1024Ei18rocsparse_bfloat16S1_ffEEv20rocsparse_operation_lNS_24const_host_device_scalarIT4_EEPKT0_S8_PKT1_PKT2_PT3_21rocsparse_index_base_b
		.amdhsa_group_segment_fixed_size 0
		.amdhsa_private_segment_fixed_size 0
		.amdhsa_kernarg_size 328
		.amdhsa_user_sgpr_count 2
		.amdhsa_user_sgpr_dispatch_ptr 0
		.amdhsa_user_sgpr_queue_ptr 0
		.amdhsa_user_sgpr_kernarg_segment_ptr 1
		.amdhsa_user_sgpr_dispatch_id 0
		.amdhsa_user_sgpr_kernarg_preload_length 0
		.amdhsa_user_sgpr_kernarg_preload_offset 0
		.amdhsa_user_sgpr_private_segment_size 0
		.amdhsa_wavefront_size32 1
		.amdhsa_uses_dynamic_stack 0
		.amdhsa_enable_private_segment 0
		.amdhsa_system_sgpr_workgroup_id_x 1
		.amdhsa_system_sgpr_workgroup_id_y 0
		.amdhsa_system_sgpr_workgroup_id_z 0
		.amdhsa_system_sgpr_workgroup_info 0
		.amdhsa_system_vgpr_workitem_id 0
		.amdhsa_next_free_vgpr 6
		.amdhsa_next_free_sgpr 16
		.amdhsa_named_barrier_count 0
		.amdhsa_reserve_vcc 1
		.amdhsa_float_round_mode_32 0
		.amdhsa_float_round_mode_16_64 0
		.amdhsa_float_denorm_mode_32 3
		.amdhsa_float_denorm_mode_16_64 3
		.amdhsa_fp16_overflow 0
		.amdhsa_memory_ordered 1
		.amdhsa_forward_progress 1
		.amdhsa_inst_pref_size 3
		.amdhsa_round_robin_scheduling 0
		.amdhsa_exception_fp_ieee_invalid_op 0
		.amdhsa_exception_fp_denorm_src 0
		.amdhsa_exception_fp_ieee_div_zero 0
		.amdhsa_exception_fp_ieee_overflow 0
		.amdhsa_exception_fp_ieee_underflow 0
		.amdhsa_exception_fp_ieee_inexact 0
		.amdhsa_exception_int_div_zero 0
	.end_amdhsa_kernel
	.section	.text._ZN9rocsparseL13coomvt_kernelILj1024Ei18rocsparse_bfloat16S1_ffEEv20rocsparse_operation_lNS_24const_host_device_scalarIT4_EEPKT0_S8_PKT1_PKT2_PT3_21rocsparse_index_base_b,"axG",@progbits,_ZN9rocsparseL13coomvt_kernelILj1024Ei18rocsparse_bfloat16S1_ffEEv20rocsparse_operation_lNS_24const_host_device_scalarIT4_EEPKT0_S8_PKT1_PKT2_PT3_21rocsparse_index_base_b,comdat
.Lfunc_end69:
	.size	_ZN9rocsparseL13coomvt_kernelILj1024Ei18rocsparse_bfloat16S1_ffEEv20rocsparse_operation_lNS_24const_host_device_scalarIT4_EEPKT0_S8_PKT1_PKT2_PT3_21rocsparse_index_base_b, .Lfunc_end69-_ZN9rocsparseL13coomvt_kernelILj1024Ei18rocsparse_bfloat16S1_ffEEv20rocsparse_operation_lNS_24const_host_device_scalarIT4_EEPKT0_S8_PKT1_PKT2_PT3_21rocsparse_index_base_b
                                        ; -- End function
	.set _ZN9rocsparseL13coomvt_kernelILj1024Ei18rocsparse_bfloat16S1_ffEEv20rocsparse_operation_lNS_24const_host_device_scalarIT4_EEPKT0_S8_PKT1_PKT2_PT3_21rocsparse_index_base_b.num_vgpr, 6
	.set _ZN9rocsparseL13coomvt_kernelILj1024Ei18rocsparse_bfloat16S1_ffEEv20rocsparse_operation_lNS_24const_host_device_scalarIT4_EEPKT0_S8_PKT1_PKT2_PT3_21rocsparse_index_base_b.num_agpr, 0
	.set _ZN9rocsparseL13coomvt_kernelILj1024Ei18rocsparse_bfloat16S1_ffEEv20rocsparse_operation_lNS_24const_host_device_scalarIT4_EEPKT0_S8_PKT1_PKT2_PT3_21rocsparse_index_base_b.numbered_sgpr, 16
	.set _ZN9rocsparseL13coomvt_kernelILj1024Ei18rocsparse_bfloat16S1_ffEEv20rocsparse_operation_lNS_24const_host_device_scalarIT4_EEPKT0_S8_PKT1_PKT2_PT3_21rocsparse_index_base_b.num_named_barrier, 0
	.set _ZN9rocsparseL13coomvt_kernelILj1024Ei18rocsparse_bfloat16S1_ffEEv20rocsparse_operation_lNS_24const_host_device_scalarIT4_EEPKT0_S8_PKT1_PKT2_PT3_21rocsparse_index_base_b.private_seg_size, 0
	.set _ZN9rocsparseL13coomvt_kernelILj1024Ei18rocsparse_bfloat16S1_ffEEv20rocsparse_operation_lNS_24const_host_device_scalarIT4_EEPKT0_S8_PKT1_PKT2_PT3_21rocsparse_index_base_b.uses_vcc, 1
	.set _ZN9rocsparseL13coomvt_kernelILj1024Ei18rocsparse_bfloat16S1_ffEEv20rocsparse_operation_lNS_24const_host_device_scalarIT4_EEPKT0_S8_PKT1_PKT2_PT3_21rocsparse_index_base_b.uses_flat_scratch, 0
	.set _ZN9rocsparseL13coomvt_kernelILj1024Ei18rocsparse_bfloat16S1_ffEEv20rocsparse_operation_lNS_24const_host_device_scalarIT4_EEPKT0_S8_PKT1_PKT2_PT3_21rocsparse_index_base_b.has_dyn_sized_stack, 0
	.set _ZN9rocsparseL13coomvt_kernelILj1024Ei18rocsparse_bfloat16S1_ffEEv20rocsparse_operation_lNS_24const_host_device_scalarIT4_EEPKT0_S8_PKT1_PKT2_PT3_21rocsparse_index_base_b.has_recursion, 0
	.set _ZN9rocsparseL13coomvt_kernelILj1024Ei18rocsparse_bfloat16S1_ffEEv20rocsparse_operation_lNS_24const_host_device_scalarIT4_EEPKT0_S8_PKT1_PKT2_PT3_21rocsparse_index_base_b.has_indirect_call, 0
	.section	.AMDGPU.csdata,"",@progbits
; Kernel info:
; codeLenInByte = 316
; TotalNumSgprs: 18
; NumVgprs: 6
; ScratchSize: 0
; MemoryBound: 0
; FloatMode: 240
; IeeeMode: 1
; LDSByteSize: 0 bytes/workgroup (compile time only)
; SGPRBlocks: 0
; VGPRBlocks: 0
; NumSGPRsForWavesPerEU: 18
; NumVGPRsForWavesPerEU: 6
; NamedBarCnt: 0
; Occupancy: 16
; WaveLimiterHint : 1
; COMPUTE_PGM_RSRC2:SCRATCH_EN: 0
; COMPUTE_PGM_RSRC2:USER_SGPR: 2
; COMPUTE_PGM_RSRC2:TRAP_HANDLER: 0
; COMPUTE_PGM_RSRC2:TGID_X_EN: 1
; COMPUTE_PGM_RSRC2:TGID_Y_EN: 0
; COMPUTE_PGM_RSRC2:TGID_Z_EN: 0
; COMPUTE_PGM_RSRC2:TIDIG_COMP_CNT: 0
	.section	.text._ZN9rocsparseL19coomvn_atomic_loopsILj256ELj1Ei18rocsparse_bfloat16S1_ffEEvlNS_24const_host_device_scalarIT5_EEPKT1_S7_PKT2_PKT3_PT4_21rocsparse_index_base_b,"axG",@progbits,_ZN9rocsparseL19coomvn_atomic_loopsILj256ELj1Ei18rocsparse_bfloat16S1_ffEEvlNS_24const_host_device_scalarIT5_EEPKT1_S7_PKT2_PKT3_PT4_21rocsparse_index_base_b,comdat
	.globl	_ZN9rocsparseL19coomvn_atomic_loopsILj256ELj1Ei18rocsparse_bfloat16S1_ffEEvlNS_24const_host_device_scalarIT5_EEPKT1_S7_PKT2_PKT3_PT4_21rocsparse_index_base_b ; -- Begin function _ZN9rocsparseL19coomvn_atomic_loopsILj256ELj1Ei18rocsparse_bfloat16S1_ffEEvlNS_24const_host_device_scalarIT5_EEPKT1_S7_PKT2_PKT3_PT4_21rocsparse_index_base_b
	.p2align	8
	.type	_ZN9rocsparseL19coomvn_atomic_loopsILj256ELj1Ei18rocsparse_bfloat16S1_ffEEvlNS_24const_host_device_scalarIT5_EEPKT1_S7_PKT2_PKT3_PT4_21rocsparse_index_base_b,@function
_ZN9rocsparseL19coomvn_atomic_loopsILj256ELj1Ei18rocsparse_bfloat16S1_ffEEvlNS_24const_host_device_scalarIT5_EEPKT1_S7_PKT2_PKT3_PT4_21rocsparse_index_base_b: ; @_ZN9rocsparseL19coomvn_atomic_loopsILj256ELj1Ei18rocsparse_bfloat16S1_ffEEvlNS_24const_host_device_scalarIT5_EEPKT1_S7_PKT2_PKT3_PT4_21rocsparse_index_base_b
; %bb.0:
	s_clause 0x1
	s_load_b64 s[2:3], s[0:1], 0x38
	s_load_b128 s[4:7], s[0:1], 0x0
	s_wait_kmcnt 0x0
	s_bitcmp1_b32 s3, 0
	s_cselect_b32 s3, -1, 0
	s_delay_alu instid0(SALU_CYCLE_1)
	s_and_b32 vcc_lo, exec_lo, s3
	s_cbranch_vccnz .LBB70_2
; %bb.1:
	s_load_b32 s6, s[6:7], 0x0
.LBB70_2:
	s_wait_kmcnt 0x0
	s_cmp_eq_f32 s6, 0
	s_cbranch_scc1 .LBB70_42
; %bb.3:
	s_bfe_u32 s3, ttmp6, 0x4000c
	s_and_b32 s7, ttmp6, 15
	s_add_co_i32 s3, s3, 1
	s_getreg_b32 s8, hwreg(HW_REG_IB_STS2, 6, 4)
	s_mul_i32 s3, ttmp9, s3
	v_dual_mov_b32 v3, 0 :: v_dual_mov_b32 v1, -1
	s_add_co_i32 s7, s7, s3
	s_cmp_eq_u32 s8, 0
	s_cselect_b32 s3, ttmp9, s7
	s_delay_alu instid0(SALU_CYCLE_1) | instskip(SKIP_1) | instid1(VALU_DEP_1)
	v_lshl_or_b32 v2, s3, 8, v0
	s_mov_b32 s3, exec_lo
	v_cmpx_gt_i64_e64 s[4:5], v[2:3]
	s_cbranch_execz .LBB70_5
; %bb.4:
	s_load_b256 s[8:15], s[0:1], 0x10
	v_lshlrev_b64_e32 v[4:5], 2, v[2:3]
	s_wait_kmcnt 0x0
	s_delay_alu instid0(VALU_DEP_1)
	v_add_nc_u64_e32 v[6:7], s[10:11], v[4:5]
	v_lshl_add_u64 v[2:3], v[2:3], 1, s[12:13]
	v_add_nc_u64_e32 v[4:5], s[8:9], v[4:5]
	global_load_b32 v1, v[6:7], off th:TH_LOAD_NT
	s_wait_loadcnt 0x0
	v_subrev_nc_u32_e32 v1, s2, v1
	global_load_u16 v6, v[2:3], off
	global_load_u16 v7, v1, s[14:15] scale_offset
	global_load_b32 v8, v[4:5], off th:TH_LOAD_NT
	s_wait_loadcnt 0x1
	s_wait_xcnt 0x2
	v_dual_lshlrev_b32 v2, 16, v6 :: v_dual_lshlrev_b32 v3, 16, v7
	s_wait_loadcnt 0x0
	v_subrev_nc_u32_e32 v1, s2, v8
	s_delay_alu instid0(VALU_DEP_2)
	v_mul_f32_e32 v3, v3, v2
.LBB70_5:
	s_or_b32 exec_lo, exec_lo, s3
	v_lshlrev_b32_e32 v2, 2, v0
	s_mov_b32 s2, exec_lo
	s_delay_alu instid0(VALU_DEP_1)
	v_or_b32_e32 v4, 0x400, v2
	ds_store_2addr_stride64_b32 v2, v1, v3 offset1:4
	s_wait_dscnt 0x0
	s_barrier_signal -1
	s_barrier_wait -1
	v_cmpx_ne_u32_e32 0, v0
	s_cbranch_execz .LBB70_9
; %bb.6:
	v_add_nc_u32_e32 v5, -4, v2
	s_mov_b32 s3, exec_lo
	ds_load_b32 v5, v5
	s_wait_dscnt 0x0
	v_cmpx_eq_u32_e64 v1, v5
	s_cbranch_execz .LBB70_8
; %bb.7:
	v_add_nc_u32_e32 v5, -4, v4
	ds_load_b32 v5, v5
	s_wait_dscnt 0x0
	v_add_f32_e32 v3, v3, v5
.LBB70_8:
	s_or_b32 exec_lo, exec_lo, s3
.LBB70_9:
	s_delay_alu instid0(SALU_CYCLE_1) | instskip(NEXT) | instid1(SALU_CYCLE_1)
	s_or_b32 exec_lo, exec_lo, s2
	s_mov_b32 s2, exec_lo
	s_barrier_signal -1
	s_barrier_wait -1
	ds_store_b32 v4, v3
	s_wait_dscnt 0x0
	s_barrier_signal -1
	s_barrier_wait -1
	v_cmpx_lt_u32_e32 1, v0
	s_cbranch_execz .LBB70_13
; %bb.10:
	v_add_nc_u32_e32 v5, -8, v2
	s_mov_b32 s3, exec_lo
	ds_load_b32 v5, v5
	s_wait_dscnt 0x0
	v_cmpx_eq_u32_e64 v1, v5
	s_cbranch_execz .LBB70_12
; %bb.11:
	v_add_nc_u32_e32 v5, -8, v4
	ds_load_b32 v5, v5
	s_wait_dscnt 0x0
	v_add_f32_e32 v3, v3, v5
.LBB70_12:
	s_or_b32 exec_lo, exec_lo, s3
.LBB70_13:
	s_delay_alu instid0(SALU_CYCLE_1) | instskip(NEXT) | instid1(SALU_CYCLE_1)
	s_or_b32 exec_lo, exec_lo, s2
	s_mov_b32 s2, exec_lo
	s_barrier_signal -1
	s_barrier_wait -1
	ds_store_b32 v4, v3
	s_wait_dscnt 0x0
	s_barrier_signal -1
	s_barrier_wait -1
	v_cmpx_lt_u32_e32 3, v0
	;; [unrolled: 26-line block ×3, first 2 shown]
	s_cbranch_execz .LBB70_21
; %bb.18:
	v_subrev_nc_u32_e32 v5, 32, v2
	s_mov_b32 s3, exec_lo
	ds_load_b32 v5, v5
	s_wait_dscnt 0x0
	v_cmpx_eq_u32_e64 v1, v5
	s_cbranch_execz .LBB70_20
; %bb.19:
	v_subrev_nc_u32_e32 v5, 32, v4
	ds_load_b32 v5, v5
	s_wait_dscnt 0x0
	v_add_f32_e32 v3, v3, v5
.LBB70_20:
	s_or_b32 exec_lo, exec_lo, s3
.LBB70_21:
	s_delay_alu instid0(SALU_CYCLE_1) | instskip(NEXT) | instid1(SALU_CYCLE_1)
	s_or_b32 exec_lo, exec_lo, s2
	s_mov_b32 s2, exec_lo
	s_barrier_signal -1
	s_barrier_wait -1
	ds_store_b32 v4, v3
	s_wait_dscnt 0x0
	s_barrier_signal -1
	s_barrier_wait -1
	v_cmpx_lt_u32_e32 15, v0
	s_cbranch_execz .LBB70_25
; %bb.22:
	v_subrev_nc_u32_e32 v5, 64, v2
	s_mov_b32 s3, exec_lo
	ds_load_b32 v5, v5
	s_wait_dscnt 0x0
	v_cmpx_eq_u32_e64 v1, v5
	s_cbranch_execz .LBB70_24
; %bb.23:
	v_subrev_nc_u32_e32 v5, 64, v4
	ds_load_b32 v5, v5
	s_wait_dscnt 0x0
	v_add_f32_e32 v3, v3, v5
.LBB70_24:
	s_or_b32 exec_lo, exec_lo, s3
.LBB70_25:
	s_delay_alu instid0(SALU_CYCLE_1) | instskip(NEXT) | instid1(SALU_CYCLE_1)
	s_or_b32 exec_lo, exec_lo, s2
	s_mov_b32 s2, exec_lo
	s_barrier_signal -1
	s_barrier_wait -1
	ds_store_b32 v4, v3
	s_wait_dscnt 0x0
	s_barrier_signal -1
	s_barrier_wait -1
	v_cmpx_lt_u32_e32 31, v0
	s_cbranch_execz .LBB70_29
; %bb.26:
	v_add_nc_u32_e32 v5, 0xffffff80, v2
	s_mov_b32 s3, exec_lo
	ds_load_b32 v5, v5
	s_wait_dscnt 0x0
	v_cmpx_eq_u32_e64 v1, v5
	s_cbranch_execz .LBB70_28
; %bb.27:
	v_add_nc_u32_e32 v5, 0xffffff80, v4
	ds_load_b32 v5, v5
	s_wait_dscnt 0x0
	v_add_f32_e32 v3, v3, v5
.LBB70_28:
	s_or_b32 exec_lo, exec_lo, s3
.LBB70_29:
	s_delay_alu instid0(SALU_CYCLE_1) | instskip(NEXT) | instid1(SALU_CYCLE_1)
	s_or_b32 exec_lo, exec_lo, s2
	s_mov_b32 s2, exec_lo
	s_barrier_signal -1
	s_barrier_wait -1
	ds_store_b32 v4, v3
	s_wait_dscnt 0x0
	s_barrier_signal -1
	s_barrier_wait -1
	v_cmpx_lt_u32_e32 63, v0
	s_cbranch_execz .LBB70_33
; %bb.30:
	v_add_nc_u32_e32 v5, 0xffffff00, v2
	s_mov_b32 s3, exec_lo
	ds_load_b32 v5, v5
	s_wait_dscnt 0x0
	v_cmpx_eq_u32_e64 v1, v5
	s_cbranch_execz .LBB70_32
; %bb.31:
	v_add_nc_u32_e32 v5, 0xffffff00, v4
	ds_load_b32 v5, v5
	s_wait_dscnt 0x0
	v_add_f32_e32 v3, v3, v5
.LBB70_32:
	s_or_b32 exec_lo, exec_lo, s3
.LBB70_33:
	s_delay_alu instid0(SALU_CYCLE_1)
	s_or_b32 exec_lo, exec_lo, s2
	s_load_b64 s[2:3], s[0:1], 0x30
	s_wait_xcnt 0x0
	s_mov_b32 s0, exec_lo
	s_barrier_signal -1
	s_barrier_wait -1
	ds_store_b32 v4, v3
	s_wait_dscnt 0x0
	s_barrier_signal -1
	s_barrier_wait -1
	v_cmpx_lt_u32_e32 0x7f, v0
	s_cbranch_execz .LBB70_37
; %bb.34:
	v_add_nc_u32_e32 v5, 0xfffffe00, v2
	s_mov_b32 s1, exec_lo
	ds_load_b32 v5, v5
	s_wait_dscnt 0x0
	v_cmpx_eq_u32_e64 v1, v5
	s_cbranch_execz .LBB70_36
; %bb.35:
	v_add_nc_u32_e32 v5, 0xfffffe00, v4
	ds_load_b32 v5, v5
	s_wait_dscnt 0x0
	v_add_f32_e32 v3, v3, v5
.LBB70_36:
	s_or_b32 exec_lo, exec_lo, s1
.LBB70_37:
	s_delay_alu instid0(SALU_CYCLE_1) | instskip(NEXT) | instid1(SALU_CYCLE_1)
	s_or_b32 exec_lo, exec_lo, s0
	s_mov_b32 s1, exec_lo
	s_barrier_signal -1
	s_barrier_wait -1
	ds_store_b32 v4, v3
	s_wait_dscnt 0x0
	s_barrier_signal -1
	s_barrier_wait -1
	v_cmpx_gt_u32_e32 0xff, v0
	s_cbranch_execz .LBB70_40
; %bb.38:
	ds_load_b32 v2, v2 offset:4
	v_cmp_lt_i32_e64 s0, -1, v1
	s_wait_dscnt 0x0
	v_cmp_ne_u32_e32 vcc_lo, v1, v2
	s_and_b32 s0, s0, vcc_lo
	s_delay_alu instid0(SALU_CYCLE_1)
	s_and_b32 exec_lo, exec_lo, s0
	s_cbranch_execz .LBB70_40
; %bb.39:
	v_mul_f32_e32 v2, s6, v3
	s_wait_kmcnt 0x0
	global_atomic_add_f32 v1, v2, s[2:3] scale_offset scope:SCOPE_DEV
.LBB70_40:
	s_wait_xcnt 0x0
	s_or_b32 exec_lo, exec_lo, s1
	v_cmp_eq_u32_e32 vcc_lo, 0xff, v0
	v_cmp_lt_i32_e64 s0, -1, v1
	s_and_b32 s0, vcc_lo, s0
	s_delay_alu instid0(SALU_CYCLE_1)
	s_and_saveexec_b32 s1, s0
	s_cbranch_execz .LBB70_42
; %bb.41:
	v_mul_f32_e32 v0, s6, v3
	s_wait_kmcnt 0x0
	global_atomic_add_f32 v1, v0, s[2:3] scale_offset scope:SCOPE_DEV
.LBB70_42:
	s_endpgm
	.section	.rodata,"a",@progbits
	.p2align	6, 0x0
	.amdhsa_kernel _ZN9rocsparseL19coomvn_atomic_loopsILj256ELj1Ei18rocsparse_bfloat16S1_ffEEvlNS_24const_host_device_scalarIT5_EEPKT1_S7_PKT2_PKT3_PT4_21rocsparse_index_base_b
		.amdhsa_group_segment_fixed_size 2048
		.amdhsa_private_segment_fixed_size 0
		.amdhsa_kernarg_size 64
		.amdhsa_user_sgpr_count 2
		.amdhsa_user_sgpr_dispatch_ptr 0
		.amdhsa_user_sgpr_queue_ptr 0
		.amdhsa_user_sgpr_kernarg_segment_ptr 1
		.amdhsa_user_sgpr_dispatch_id 0
		.amdhsa_user_sgpr_kernarg_preload_length 0
		.amdhsa_user_sgpr_kernarg_preload_offset 0
		.amdhsa_user_sgpr_private_segment_size 0
		.amdhsa_wavefront_size32 1
		.amdhsa_uses_dynamic_stack 0
		.amdhsa_enable_private_segment 0
		.amdhsa_system_sgpr_workgroup_id_x 1
		.amdhsa_system_sgpr_workgroup_id_y 0
		.amdhsa_system_sgpr_workgroup_id_z 0
		.amdhsa_system_sgpr_workgroup_info 0
		.amdhsa_system_vgpr_workitem_id 0
		.amdhsa_next_free_vgpr 9
		.amdhsa_next_free_sgpr 16
		.amdhsa_named_barrier_count 0
		.amdhsa_reserve_vcc 1
		.amdhsa_float_round_mode_32 0
		.amdhsa_float_round_mode_16_64 0
		.amdhsa_float_denorm_mode_32 3
		.amdhsa_float_denorm_mode_16_64 3
		.amdhsa_fp16_overflow 0
		.amdhsa_memory_ordered 1
		.amdhsa_forward_progress 1
		.amdhsa_inst_pref_size 11
		.amdhsa_round_robin_scheduling 0
		.amdhsa_exception_fp_ieee_invalid_op 0
		.amdhsa_exception_fp_denorm_src 0
		.amdhsa_exception_fp_ieee_div_zero 0
		.amdhsa_exception_fp_ieee_overflow 0
		.amdhsa_exception_fp_ieee_underflow 0
		.amdhsa_exception_fp_ieee_inexact 0
		.amdhsa_exception_int_div_zero 0
	.end_amdhsa_kernel
	.section	.text._ZN9rocsparseL19coomvn_atomic_loopsILj256ELj1Ei18rocsparse_bfloat16S1_ffEEvlNS_24const_host_device_scalarIT5_EEPKT1_S7_PKT2_PKT3_PT4_21rocsparse_index_base_b,"axG",@progbits,_ZN9rocsparseL19coomvn_atomic_loopsILj256ELj1Ei18rocsparse_bfloat16S1_ffEEvlNS_24const_host_device_scalarIT5_EEPKT1_S7_PKT2_PKT3_PT4_21rocsparse_index_base_b,comdat
.Lfunc_end70:
	.size	_ZN9rocsparseL19coomvn_atomic_loopsILj256ELj1Ei18rocsparse_bfloat16S1_ffEEvlNS_24const_host_device_scalarIT5_EEPKT1_S7_PKT2_PKT3_PT4_21rocsparse_index_base_b, .Lfunc_end70-_ZN9rocsparseL19coomvn_atomic_loopsILj256ELj1Ei18rocsparse_bfloat16S1_ffEEvlNS_24const_host_device_scalarIT5_EEPKT1_S7_PKT2_PKT3_PT4_21rocsparse_index_base_b
                                        ; -- End function
	.set _ZN9rocsparseL19coomvn_atomic_loopsILj256ELj1Ei18rocsparse_bfloat16S1_ffEEvlNS_24const_host_device_scalarIT5_EEPKT1_S7_PKT2_PKT3_PT4_21rocsparse_index_base_b.num_vgpr, 9
	.set _ZN9rocsparseL19coomvn_atomic_loopsILj256ELj1Ei18rocsparse_bfloat16S1_ffEEvlNS_24const_host_device_scalarIT5_EEPKT1_S7_PKT2_PKT3_PT4_21rocsparse_index_base_b.num_agpr, 0
	.set _ZN9rocsparseL19coomvn_atomic_loopsILj256ELj1Ei18rocsparse_bfloat16S1_ffEEvlNS_24const_host_device_scalarIT5_EEPKT1_S7_PKT2_PKT3_PT4_21rocsparse_index_base_b.numbered_sgpr, 16
	.set _ZN9rocsparseL19coomvn_atomic_loopsILj256ELj1Ei18rocsparse_bfloat16S1_ffEEvlNS_24const_host_device_scalarIT5_EEPKT1_S7_PKT2_PKT3_PT4_21rocsparse_index_base_b.num_named_barrier, 0
	.set _ZN9rocsparseL19coomvn_atomic_loopsILj256ELj1Ei18rocsparse_bfloat16S1_ffEEvlNS_24const_host_device_scalarIT5_EEPKT1_S7_PKT2_PKT3_PT4_21rocsparse_index_base_b.private_seg_size, 0
	.set _ZN9rocsparseL19coomvn_atomic_loopsILj256ELj1Ei18rocsparse_bfloat16S1_ffEEvlNS_24const_host_device_scalarIT5_EEPKT1_S7_PKT2_PKT3_PT4_21rocsparse_index_base_b.uses_vcc, 1
	.set _ZN9rocsparseL19coomvn_atomic_loopsILj256ELj1Ei18rocsparse_bfloat16S1_ffEEvlNS_24const_host_device_scalarIT5_EEPKT1_S7_PKT2_PKT3_PT4_21rocsparse_index_base_b.uses_flat_scratch, 0
	.set _ZN9rocsparseL19coomvn_atomic_loopsILj256ELj1Ei18rocsparse_bfloat16S1_ffEEvlNS_24const_host_device_scalarIT5_EEPKT1_S7_PKT2_PKT3_PT4_21rocsparse_index_base_b.has_dyn_sized_stack, 0
	.set _ZN9rocsparseL19coomvn_atomic_loopsILj256ELj1Ei18rocsparse_bfloat16S1_ffEEvlNS_24const_host_device_scalarIT5_EEPKT1_S7_PKT2_PKT3_PT4_21rocsparse_index_base_b.has_recursion, 0
	.set _ZN9rocsparseL19coomvn_atomic_loopsILj256ELj1Ei18rocsparse_bfloat16S1_ffEEvlNS_24const_host_device_scalarIT5_EEPKT1_S7_PKT2_PKT3_PT4_21rocsparse_index_base_b.has_indirect_call, 0
	.section	.AMDGPU.csdata,"",@progbits
; Kernel info:
; codeLenInByte = 1320
; TotalNumSgprs: 18
; NumVgprs: 9
; ScratchSize: 0
; MemoryBound: 0
; FloatMode: 240
; IeeeMode: 1
; LDSByteSize: 2048 bytes/workgroup (compile time only)
; SGPRBlocks: 0
; VGPRBlocks: 0
; NumSGPRsForWavesPerEU: 18
; NumVGPRsForWavesPerEU: 9
; NamedBarCnt: 0
; Occupancy: 16
; WaveLimiterHint : 1
; COMPUTE_PGM_RSRC2:SCRATCH_EN: 0
; COMPUTE_PGM_RSRC2:USER_SGPR: 2
; COMPUTE_PGM_RSRC2:TRAP_HANDLER: 0
; COMPUTE_PGM_RSRC2:TGID_X_EN: 1
; COMPUTE_PGM_RSRC2:TGID_Y_EN: 0
; COMPUTE_PGM_RSRC2:TGID_Z_EN: 0
; COMPUTE_PGM_RSRC2:TIDIG_COMP_CNT: 0
	.section	.text._ZN9rocsparseL19coomvn_atomic_loopsILj256ELj2Ei18rocsparse_bfloat16S1_ffEEvlNS_24const_host_device_scalarIT5_EEPKT1_S7_PKT2_PKT3_PT4_21rocsparse_index_base_b,"axG",@progbits,_ZN9rocsparseL19coomvn_atomic_loopsILj256ELj2Ei18rocsparse_bfloat16S1_ffEEvlNS_24const_host_device_scalarIT5_EEPKT1_S7_PKT2_PKT3_PT4_21rocsparse_index_base_b,comdat
	.globl	_ZN9rocsparseL19coomvn_atomic_loopsILj256ELj2Ei18rocsparse_bfloat16S1_ffEEvlNS_24const_host_device_scalarIT5_EEPKT1_S7_PKT2_PKT3_PT4_21rocsparse_index_base_b ; -- Begin function _ZN9rocsparseL19coomvn_atomic_loopsILj256ELj2Ei18rocsparse_bfloat16S1_ffEEvlNS_24const_host_device_scalarIT5_EEPKT1_S7_PKT2_PKT3_PT4_21rocsparse_index_base_b
	.p2align	8
	.type	_ZN9rocsparseL19coomvn_atomic_loopsILj256ELj2Ei18rocsparse_bfloat16S1_ffEEvlNS_24const_host_device_scalarIT5_EEPKT1_S7_PKT2_PKT3_PT4_21rocsparse_index_base_b,@function
_ZN9rocsparseL19coomvn_atomic_loopsILj256ELj2Ei18rocsparse_bfloat16S1_ffEEvlNS_24const_host_device_scalarIT5_EEPKT1_S7_PKT2_PKT3_PT4_21rocsparse_index_base_b: ; @_ZN9rocsparseL19coomvn_atomic_loopsILj256ELj2Ei18rocsparse_bfloat16S1_ffEEvlNS_24const_host_device_scalarIT5_EEPKT1_S7_PKT2_PKT3_PT4_21rocsparse_index_base_b
; %bb.0:
	s_clause 0x1
	s_load_b64 s[24:25], s[0:1], 0x38
	s_load_b128 s[20:23], s[0:1], 0x0
	s_wait_kmcnt 0x0
	s_bitcmp1_b32 s25, 0
	s_cselect_b32 s2, -1, 0
	s_delay_alu instid0(SALU_CYCLE_1)
	s_and_b32 vcc_lo, exec_lo, s2
	s_cbranch_vccnz .LBB71_2
; %bb.1:
	s_load_b32 s22, s[22:23], 0x0
.LBB71_2:
	s_wait_kmcnt 0x0
	s_cmp_eq_f32 s22, 0
	s_cbranch_scc1 .LBB71_88
; %bb.3:
	s_load_b256 s[12:19], s[0:1], 0x10
	s_bfe_u32 s2, ttmp6, 0x4000c
	s_and_b32 s3, ttmp6, 15
	s_add_co_i32 s2, s2, 1
	s_getreg_b32 s4, hwreg(HW_REG_IB_STS2, 6, 4)
	s_mul_i32 s2, ttmp9, s2
	v_dual_mov_b32 v7, 0 :: v_dual_mov_b32 v17, -1
	s_add_co_i32 s3, s3, s2
	s_cmp_eq_u32 s4, 0
	s_cselect_b32 s2, ttmp9, s3
	s_delay_alu instid0(VALU_DEP_1) | instskip(SKIP_2) | instid1(VALU_DEP_1)
	v_mov_b32_e32 v18, v7
	v_lshl_or_b32 v6, s2, 9, v0
	s_mov_b32 s2, exec_lo
	v_lshlrev_b64_e32 v[4:5], 2, v[6:7]
	s_wait_kmcnt 0x0
	v_lshl_add_u64 v[2:3], v[6:7], 1, s[16:17]
	v_cmpx_gt_i64_e64 s[20:21], v[6:7]
	s_cbranch_execz .LBB71_5
; %bb.4:
	s_delay_alu instid0(VALU_DEP_3)
	v_add_nc_u64_e32 v[8:9], s[14:15], v[4:5]
	global_load_b32 v1, v[8:9], off th:TH_LOAD_NT
	s_wait_xcnt 0x0
	v_add_nc_u64_e32 v[8:9], s[12:13], v[4:5]
	s_wait_loadcnt 0x0
	v_subrev_nc_u32_e32 v1, s24, v1
	global_load_u16 v10, v[2:3], off
	global_load_u16 v11, v1, s[18:19] scale_offset
	global_load_b32 v12, v[8:9], off th:TH_LOAD_NT
	s_wait_loadcnt 0x1
	s_wait_xcnt 0x0
	v_dual_lshlrev_b32 v1, 16, v10 :: v_dual_lshlrev_b32 v8, 16, v11
	s_wait_loadcnt 0x0
	v_subrev_nc_u32_e32 v17, s24, v12
	s_delay_alu instid0(VALU_DEP_2)
	v_mul_f32_e32 v18, v8, v1
.LBB71_5:
	s_or_b32 exec_lo, exec_lo, s2
	v_lshlrev_b32_e32 v1, 2, v0
	v_cmp_ne_u32_e64 s2, 0, v0
	v_cmp_eq_u32_e32 vcc_lo, 0, v0
	s_delay_alu instid0(VALU_DEP_3)
	v_or_b32_e32 v8, 0x400, v1
	v_add_nc_u32_e32 v9, -4, v1
	ds_store_2addr_stride64_b32 v1, v17, v18 offset1:4
	s_wait_dscnt 0x0
	s_barrier_signal -1
	s_barrier_wait -1
	s_and_saveexec_b32 s4, s2
	s_cbranch_execz .LBB71_9
; %bb.6:
	ds_load_b32 v10, v9
	s_mov_b32 s5, exec_lo
	s_wait_dscnt 0x0
	v_cmpx_eq_u32_e64 v17, v10
	s_cbranch_execz .LBB71_8
; %bb.7:
	v_add_nc_u32_e32 v10, -4, v8
	ds_load_b32 v10, v10
	s_wait_dscnt 0x0
	v_add_f32_e32 v18, v18, v10
.LBB71_8:
	s_or_b32 exec_lo, exec_lo, s5
.LBB71_9:
	s_delay_alu instid0(SALU_CYCLE_1)
	s_or_b32 exec_lo, exec_lo, s4
	v_cmp_lt_u32_e64 s3, 1, v0
	v_add_nc_u32_e32 v10, -8, v1
	s_barrier_signal -1
	s_barrier_wait -1
	ds_store_b32 v8, v18
	s_wait_dscnt 0x0
	s_barrier_signal -1
	s_barrier_wait -1
	s_and_saveexec_b32 s5, s3
	s_cbranch_execz .LBB71_13
; %bb.10:
	ds_load_b32 v11, v10
	s_mov_b32 s6, exec_lo
	s_wait_dscnt 0x0
	v_cmpx_eq_u32_e64 v17, v11
	s_cbranch_execz .LBB71_12
; %bb.11:
	v_add_nc_u32_e32 v11, -8, v8
	ds_load_b32 v11, v11
	s_wait_dscnt 0x0
	v_add_f32_e32 v18, v18, v11
.LBB71_12:
	s_or_b32 exec_lo, exec_lo, s6
.LBB71_13:
	s_delay_alu instid0(SALU_CYCLE_1)
	s_or_b32 exec_lo, exec_lo, s5
	v_cmp_lt_u32_e64 s4, 3, v0
	v_add_nc_u32_e32 v11, -16, v1
	s_barrier_signal -1
	s_barrier_wait -1
	ds_store_b32 v8, v18
	s_wait_dscnt 0x0
	s_barrier_signal -1
	s_barrier_wait -1
	s_and_saveexec_b32 s6, s4
	s_cbranch_execz .LBB71_17
; %bb.14:
	ds_load_b32 v12, v11
	s_mov_b32 s7, exec_lo
	s_wait_dscnt 0x0
	v_cmpx_eq_u32_e64 v17, v12
	s_cbranch_execz .LBB71_16
; %bb.15:
	v_add_nc_u32_e32 v12, -16, v8
	ds_load_b32 v12, v12
	s_wait_dscnt 0x0
	v_add_f32_e32 v18, v18, v12
.LBB71_16:
	s_or_b32 exec_lo, exec_lo, s7
.LBB71_17:
	s_delay_alu instid0(SALU_CYCLE_1)
	s_or_b32 exec_lo, exec_lo, s6
	v_cmp_lt_u32_e64 s5, 7, v0
	v_subrev_nc_u32_e32 v12, 32, v1
	s_barrier_signal -1
	s_barrier_wait -1
	ds_store_b32 v8, v18
	s_wait_dscnt 0x0
	s_barrier_signal -1
	s_barrier_wait -1
	s_and_saveexec_b32 s7, s5
	s_cbranch_execz .LBB71_21
; %bb.18:
	ds_load_b32 v13, v12
	s_mov_b32 s8, exec_lo
	s_wait_dscnt 0x0
	v_cmpx_eq_u32_e64 v17, v13
	s_cbranch_execz .LBB71_20
; %bb.19:
	v_subrev_nc_u32_e32 v13, 32, v8
	ds_load_b32 v13, v13
	s_wait_dscnt 0x0
	v_add_f32_e32 v18, v18, v13
.LBB71_20:
	s_or_b32 exec_lo, exec_lo, s8
.LBB71_21:
	s_delay_alu instid0(SALU_CYCLE_1)
	s_or_b32 exec_lo, exec_lo, s7
	v_cmp_lt_u32_e64 s6, 15, v0
	v_subrev_nc_u32_e32 v13, 64, v1
	s_barrier_signal -1
	s_barrier_wait -1
	ds_store_b32 v8, v18
	s_wait_dscnt 0x0
	s_barrier_signal -1
	s_barrier_wait -1
	s_and_saveexec_b32 s8, s6
	s_cbranch_execz .LBB71_25
; %bb.22:
	ds_load_b32 v14, v13
	s_mov_b32 s9, exec_lo
	s_wait_dscnt 0x0
	v_cmpx_eq_u32_e64 v17, v14
	s_cbranch_execz .LBB71_24
; %bb.23:
	v_subrev_nc_u32_e32 v14, 64, v8
	ds_load_b32 v14, v14
	s_wait_dscnt 0x0
	v_add_f32_e32 v18, v18, v14
.LBB71_24:
	s_or_b32 exec_lo, exec_lo, s9
.LBB71_25:
	s_delay_alu instid0(SALU_CYCLE_1)
	s_or_b32 exec_lo, exec_lo, s8
	v_cmp_lt_u32_e64 s7, 31, v0
	v_add_nc_u32_e32 v14, 0xffffff80, v1
	s_barrier_signal -1
	s_barrier_wait -1
	ds_store_b32 v8, v18
	s_wait_dscnt 0x0
	s_barrier_signal -1
	s_barrier_wait -1
	s_and_saveexec_b32 s9, s7
	s_cbranch_execz .LBB71_29
; %bb.26:
	ds_load_b32 v15, v14
	s_mov_b32 s10, exec_lo
	s_wait_dscnt 0x0
	v_cmpx_eq_u32_e64 v17, v15
	s_cbranch_execz .LBB71_28
; %bb.27:
	v_add_nc_u32_e32 v15, 0xffffff80, v8
	ds_load_b32 v15, v15
	s_wait_dscnt 0x0
	v_add_f32_e32 v18, v18, v15
.LBB71_28:
	s_or_b32 exec_lo, exec_lo, s10
.LBB71_29:
	s_delay_alu instid0(SALU_CYCLE_1)
	s_or_b32 exec_lo, exec_lo, s9
	v_cmp_lt_u32_e64 s8, 63, v0
	v_add_nc_u32_e32 v15, 0xffffff00, v1
	s_barrier_signal -1
	s_barrier_wait -1
	ds_store_b32 v8, v18
	s_wait_dscnt 0x0
	s_barrier_signal -1
	s_barrier_wait -1
	s_and_saveexec_b32 s10, s8
	s_cbranch_execz .LBB71_33
; %bb.30:
	ds_load_b32 v16, v15
	s_mov_b32 s11, exec_lo
	s_wait_dscnt 0x0
	v_cmpx_eq_u32_e64 v17, v16
	s_cbranch_execz .LBB71_32
; %bb.31:
	v_add_nc_u32_e32 v16, 0xffffff00, v8
	ds_load_b32 v16, v16
	s_wait_dscnt 0x0
	v_add_f32_e32 v18, v18, v16
.LBB71_32:
	s_or_b32 exec_lo, exec_lo, s11
.LBB71_33:
	s_delay_alu instid0(SALU_CYCLE_1)
	s_or_b32 exec_lo, exec_lo, s10
	s_load_b64 s[16:17], s[0:1], 0x30
	s_wait_xcnt 0x0
	v_cmp_lt_u32_e64 s0, 0x7f, v0
	v_add_nc_u32_e32 v16, 0xfffffe00, v1
	s_barrier_signal -1
	s_barrier_wait -1
	ds_store_b32 v8, v18
	s_wait_dscnt 0x0
	s_barrier_signal -1
	s_barrier_wait -1
	s_and_saveexec_b32 s9, s0
	s_cbranch_execz .LBB71_37
; %bb.34:
	ds_load_b32 v19, v16
	s_mov_b32 s10, exec_lo
	s_wait_dscnt 0x0
	v_cmpx_eq_u32_e64 v17, v19
	s_cbranch_execz .LBB71_36
; %bb.35:
	v_add_nc_u32_e32 v19, 0xfffffe00, v8
	ds_load_b32 v19, v19
	s_wait_dscnt 0x0
	v_add_f32_e32 v18, v18, v19
.LBB71_36:
	s_or_b32 exec_lo, exec_lo, s10
.LBB71_37:
	s_delay_alu instid0(SALU_CYCLE_1)
	s_or_b32 exec_lo, exec_lo, s9
	v_cmp_gt_u32_e64 s1, 0xff, v0
	s_barrier_signal -1
	s_barrier_wait -1
	ds_store_b32 v8, v18
	s_wait_dscnt 0x0
	s_barrier_signal -1
	s_barrier_wait -1
	s_and_saveexec_b32 s11, s1
	s_cbranch_execz .LBB71_40
; %bb.38:
	ds_load_b32 v19, v1 offset:4
	v_cmp_lt_i32_e64 s10, -1, v17
	s_wait_dscnt 0x0
	v_cmp_ne_u32_e64 s9, v17, v19
	s_and_b32 s9, s10, s9
	s_delay_alu instid0(SALU_CYCLE_1)
	s_and_b32 exec_lo, exec_lo, s9
	s_cbranch_execz .LBB71_40
; %bb.39:
	v_mul_f32_e32 v18, s22, v18
	s_wait_kmcnt 0x0
	global_atomic_add_f32 v17, v18, s[16:17] scale_offset scope:SCOPE_DEV
.LBB71_40:
	s_wait_xcnt 0x0
	s_or_b32 exec_lo, exec_lo, s11
	v_add_nc_u64_e32 v[6:7], 0x100, v[6:7]
	s_delay_alu instid0(VALU_DEP_1)
	v_cmp_gt_i64_e64 s9, s[20:21], v[6:7]
	v_dual_mov_b32 v6, -1 :: v_dual_mov_b32 v7, 0
	s_and_saveexec_b32 s10, s9
	s_cbranch_execz .LBB71_42
; %bb.41:
	v_add_nc_u64_e32 v[6:7], s[14:15], v[4:5]
	v_add_nc_u64_e32 v[4:5], s[12:13], v[4:5]
	global_load_b32 v6, v[6:7], off offset:1024 th:TH_LOAD_NT
	s_wait_loadcnt 0x0
	v_subrev_nc_u32_e32 v6, s24, v6
	global_load_u16 v7, v[2:3], off offset:512
	global_load_u16 v17, v6, s[18:19] scale_offset
	global_load_b32 v18, v[4:5], off offset:1024 th:TH_LOAD_NT
	s_wait_loadcnt 0x1
	s_wait_xcnt 0x2
	v_dual_lshlrev_b32 v2, 16, v7 :: v_dual_lshlrev_b32 v3, 16, v17
	s_wait_loadcnt 0x0
	s_wait_xcnt 0x1
	v_subrev_nc_u32_e32 v6, s24, v18
	s_delay_alu instid0(VALU_DEP_2)
	v_mul_f32_e32 v7, v3, v2
.LBB71_42:
	s_wait_xcnt 0x0
	s_or_b32 exec_lo, exec_lo, s10
	s_and_saveexec_b32 s9, vcc_lo
	s_cbranch_execz .LBB71_51
; %bb.43:
	v_mov_b32_e32 v2, 0
	s_mov_b32 s10, exec_lo
	ds_load_b32 v2, v2 offset:1020
	s_wait_dscnt 0x0
	v_cmpx_ne_u32_e64 v6, v2
	s_xor_b32 s10, exec_lo, s10
	s_cbranch_execz .LBB71_48
; %bb.44:
	v_cmp_gt_i32_e32 vcc_lo, 0, v2
	s_cbranch_vccnz .LBB71_48
; %bb.45:
	s_mov_b32 s12, exec_lo
	s_mov_b32 s11, exec_lo
	v_mbcnt_lo_u32_b32 v3, s12, 0
	s_delay_alu instid0(VALU_DEP_1)
	v_cmpx_eq_u32_e32 0, v3
	s_cbranch_execz .LBB71_47
; %bb.46:
	v_mov_b32_e32 v3, 0
	s_bcnt1_i32_b32 s12, s12
	s_delay_alu instid0(SALU_CYCLE_1) | instskip(SKIP_3) | instid1(VALU_DEP_1)
	v_cvt_f32_ubyte0_e32 v4, s12
	ds_load_b32 v3, v3 offset:2044
	s_wait_dscnt 0x0
	v_mul_f32_e32 v3, s22, v3
	v_mul_f32_e32 v3, v3, v4
	s_wait_kmcnt 0x0
	global_atomic_add_f32 v2, v3, s[16:17] scale_offset scope:SCOPE_DEV
.LBB71_47:
	s_wait_xcnt 0x0
	s_or_b32 exec_lo, exec_lo, s11
.LBB71_48:
	s_and_not1_saveexec_b32 s10, s10
	s_cbranch_execz .LBB71_50
; %bb.49:
	v_mov_b32_e32 v2, 0
	ds_load_b32 v2, v2 offset:2044
	s_wait_dscnt 0x0
	v_add_f32_e32 v7, v7, v2
.LBB71_50:
	s_or_b32 exec_lo, exec_lo, s10
.LBB71_51:
	s_delay_alu instid0(SALU_CYCLE_1)
	s_or_b32 exec_lo, exec_lo, s9
	s_wait_storecnt 0x0
	s_barrier_signal -1
	s_barrier_wait -1
	ds_store_b32 v1, v6
	ds_store_b32 v8, v7
	s_wait_dscnt 0x0
	s_barrier_signal -1
	s_barrier_wait -1
	s_and_saveexec_b32 s9, s2
	s_cbranch_execz .LBB71_55
; %bb.52:
	ds_load_b32 v2, v9
	s_mov_b32 s2, exec_lo
	s_wait_dscnt 0x0
	v_cmpx_eq_u32_e64 v6, v2
	s_cbranch_execz .LBB71_54
; %bb.53:
	v_add_nc_u32_e32 v2, -4, v8
	ds_load_b32 v2, v2
	s_wait_dscnt 0x0
	v_add_f32_e32 v7, v7, v2
.LBB71_54:
	s_or_b32 exec_lo, exec_lo, s2
.LBB71_55:
	s_delay_alu instid0(SALU_CYCLE_1)
	s_or_b32 exec_lo, exec_lo, s9
	s_barrier_signal -1
	s_barrier_wait -1
	ds_store_b32 v8, v7
	s_wait_dscnt 0x0
	s_barrier_signal -1
	s_barrier_wait -1
	s_and_saveexec_b32 s2, s3
	s_cbranch_execz .LBB71_59
; %bb.56:
	ds_load_b32 v2, v10
	s_mov_b32 s3, exec_lo
	s_wait_dscnt 0x0
	v_cmpx_eq_u32_e64 v6, v2
	s_cbranch_execz .LBB71_58
; %bb.57:
	v_add_nc_u32_e32 v2, -8, v8
	ds_load_b32 v2, v2
	s_wait_dscnt 0x0
	v_add_f32_e32 v7, v7, v2
.LBB71_58:
	s_or_b32 exec_lo, exec_lo, s3
.LBB71_59:
	s_delay_alu instid0(SALU_CYCLE_1)
	s_or_b32 exec_lo, exec_lo, s2
	s_barrier_signal -1
	s_barrier_wait -1
	;; [unrolled: 24-line block ×3, first 2 shown]
	ds_store_b32 v8, v7
	s_wait_dscnt 0x0
	s_barrier_signal -1
	s_barrier_wait -1
	s_and_saveexec_b32 s2, s5
	s_cbranch_execz .LBB71_67
; %bb.64:
	ds_load_b32 v2, v12
	s_mov_b32 s3, exec_lo
	s_wait_dscnt 0x0
	v_cmpx_eq_u32_e64 v6, v2
	s_cbranch_execz .LBB71_66
; %bb.65:
	v_subrev_nc_u32_e32 v2, 32, v8
	ds_load_b32 v2, v2
	s_wait_dscnt 0x0
	v_add_f32_e32 v7, v7, v2
.LBB71_66:
	s_or_b32 exec_lo, exec_lo, s3
.LBB71_67:
	s_delay_alu instid0(SALU_CYCLE_1)
	s_or_b32 exec_lo, exec_lo, s2
	s_barrier_signal -1
	s_barrier_wait -1
	ds_store_b32 v8, v7
	s_wait_dscnt 0x0
	s_barrier_signal -1
	s_barrier_wait -1
	s_and_saveexec_b32 s2, s6
	s_cbranch_execz .LBB71_71
; %bb.68:
	ds_load_b32 v2, v13
	s_mov_b32 s3, exec_lo
	s_wait_dscnt 0x0
	v_cmpx_eq_u32_e64 v6, v2
	s_cbranch_execz .LBB71_70
; %bb.69:
	v_subrev_nc_u32_e32 v2, 64, v8
	ds_load_b32 v2, v2
	s_wait_dscnt 0x0
	v_add_f32_e32 v7, v7, v2
.LBB71_70:
	s_or_b32 exec_lo, exec_lo, s3
.LBB71_71:
	s_delay_alu instid0(SALU_CYCLE_1)
	s_or_b32 exec_lo, exec_lo, s2
	s_barrier_signal -1
	s_barrier_wait -1
	ds_store_b32 v8, v7
	s_wait_dscnt 0x0
	s_barrier_signal -1
	s_barrier_wait -1
	s_and_saveexec_b32 s2, s7
	s_cbranch_execz .LBB71_75
; %bb.72:
	ds_load_b32 v2, v14
	s_mov_b32 s3, exec_lo
	s_wait_dscnt 0x0
	v_cmpx_eq_u32_e64 v6, v2
	s_cbranch_execz .LBB71_74
; %bb.73:
	v_add_nc_u32_e32 v2, 0xffffff80, v8
	ds_load_b32 v2, v2
	s_wait_dscnt 0x0
	v_add_f32_e32 v7, v7, v2
.LBB71_74:
	s_or_b32 exec_lo, exec_lo, s3
.LBB71_75:
	s_delay_alu instid0(SALU_CYCLE_1)
	s_or_b32 exec_lo, exec_lo, s2
	s_barrier_signal -1
	s_barrier_wait -1
	ds_store_b32 v8, v7
	s_wait_dscnt 0x0
	s_barrier_signal -1
	s_barrier_wait -1
	s_and_saveexec_b32 s2, s8
	s_cbranch_execz .LBB71_79
; %bb.76:
	ds_load_b32 v2, v15
	s_mov_b32 s3, exec_lo
	s_wait_dscnt 0x0
	v_cmpx_eq_u32_e64 v6, v2
	s_cbranch_execz .LBB71_78
; %bb.77:
	v_add_nc_u32_e32 v2, 0xffffff00, v8
	ds_load_b32 v2, v2
	s_wait_dscnt 0x0
	v_add_f32_e32 v7, v7, v2
.LBB71_78:
	s_or_b32 exec_lo, exec_lo, s3
.LBB71_79:
	s_delay_alu instid0(SALU_CYCLE_1)
	s_or_b32 exec_lo, exec_lo, s2
	s_barrier_signal -1
	s_barrier_wait -1
	ds_store_b32 v8, v7
	s_wait_dscnt 0x0
	s_barrier_signal -1
	s_barrier_wait -1
	s_and_saveexec_b32 s2, s0
	s_cbranch_execz .LBB71_83
; %bb.80:
	ds_load_b32 v2, v16
	s_mov_b32 s0, exec_lo
	s_wait_dscnt 0x0
	v_cmpx_eq_u32_e64 v6, v2
	s_cbranch_execz .LBB71_82
; %bb.81:
	v_add_nc_u32_e32 v2, 0xfffffe00, v8
	ds_load_b32 v2, v2
	s_wait_dscnt 0x0
	v_add_f32_e32 v7, v7, v2
.LBB71_82:
	s_or_b32 exec_lo, exec_lo, s0
.LBB71_83:
	s_delay_alu instid0(SALU_CYCLE_1)
	s_or_b32 exec_lo, exec_lo, s2
	s_barrier_signal -1
	s_barrier_wait -1
	ds_store_b32 v8, v7
	s_wait_dscnt 0x0
	s_barrier_signal -1
	s_barrier_wait -1
	s_and_saveexec_b32 s2, s1
	s_cbranch_execz .LBB71_86
; %bb.84:
	ds_load_b32 v1, v1 offset:4
	v_cmp_lt_i32_e64 s0, -1, v6
	s_wait_dscnt 0x0
	v_cmp_ne_u32_e32 vcc_lo, v6, v1
	s_and_b32 s0, s0, vcc_lo
	s_delay_alu instid0(SALU_CYCLE_1)
	s_and_b32 exec_lo, exec_lo, s0
	s_cbranch_execz .LBB71_86
; %bb.85:
	v_mul_f32_e32 v1, s22, v7
	s_wait_kmcnt 0x0
	global_atomic_add_f32 v6, v1, s[16:17] scale_offset scope:SCOPE_DEV
.LBB71_86:
	s_wait_xcnt 0x0
	s_or_b32 exec_lo, exec_lo, s2
	v_cmp_eq_u32_e32 vcc_lo, 0xff, v0
	v_cmp_lt_i32_e64 s0, -1, v6
	s_and_b32 s0, vcc_lo, s0
	s_delay_alu instid0(SALU_CYCLE_1)
	s_and_saveexec_b32 s1, s0
	s_cbranch_execz .LBB71_88
; %bb.87:
	v_mul_f32_e32 v0, s22, v7
	s_wait_kmcnt 0x0
	global_atomic_add_f32 v6, v0, s[16:17] scale_offset scope:SCOPE_DEV
.LBB71_88:
	s_endpgm
	.section	.rodata,"a",@progbits
	.p2align	6, 0x0
	.amdhsa_kernel _ZN9rocsparseL19coomvn_atomic_loopsILj256ELj2Ei18rocsparse_bfloat16S1_ffEEvlNS_24const_host_device_scalarIT5_EEPKT1_S7_PKT2_PKT3_PT4_21rocsparse_index_base_b
		.amdhsa_group_segment_fixed_size 2048
		.amdhsa_private_segment_fixed_size 0
		.amdhsa_kernarg_size 64
		.amdhsa_user_sgpr_count 2
		.amdhsa_user_sgpr_dispatch_ptr 0
		.amdhsa_user_sgpr_queue_ptr 0
		.amdhsa_user_sgpr_kernarg_segment_ptr 1
		.amdhsa_user_sgpr_dispatch_id 0
		.amdhsa_user_sgpr_kernarg_preload_length 0
		.amdhsa_user_sgpr_kernarg_preload_offset 0
		.amdhsa_user_sgpr_private_segment_size 0
		.amdhsa_wavefront_size32 1
		.amdhsa_uses_dynamic_stack 0
		.amdhsa_enable_private_segment 0
		.amdhsa_system_sgpr_workgroup_id_x 1
		.amdhsa_system_sgpr_workgroup_id_y 0
		.amdhsa_system_sgpr_workgroup_id_z 0
		.amdhsa_system_sgpr_workgroup_info 0
		.amdhsa_system_vgpr_workitem_id 0
		.amdhsa_next_free_vgpr 20
		.amdhsa_next_free_sgpr 26
		.amdhsa_named_barrier_count 0
		.amdhsa_reserve_vcc 1
		.amdhsa_float_round_mode_32 0
		.amdhsa_float_round_mode_16_64 0
		.amdhsa_float_denorm_mode_32 3
		.amdhsa_float_denorm_mode_16_64 3
		.amdhsa_fp16_overflow 0
		.amdhsa_memory_ordered 1
		.amdhsa_forward_progress 1
		.amdhsa_inst_pref_size 21
		.amdhsa_round_robin_scheduling 0
		.amdhsa_exception_fp_ieee_invalid_op 0
		.amdhsa_exception_fp_denorm_src 0
		.amdhsa_exception_fp_ieee_div_zero 0
		.amdhsa_exception_fp_ieee_overflow 0
		.amdhsa_exception_fp_ieee_underflow 0
		.amdhsa_exception_fp_ieee_inexact 0
		.amdhsa_exception_int_div_zero 0
	.end_amdhsa_kernel
	.section	.text._ZN9rocsparseL19coomvn_atomic_loopsILj256ELj2Ei18rocsparse_bfloat16S1_ffEEvlNS_24const_host_device_scalarIT5_EEPKT1_S7_PKT2_PKT3_PT4_21rocsparse_index_base_b,"axG",@progbits,_ZN9rocsparseL19coomvn_atomic_loopsILj256ELj2Ei18rocsparse_bfloat16S1_ffEEvlNS_24const_host_device_scalarIT5_EEPKT1_S7_PKT2_PKT3_PT4_21rocsparse_index_base_b,comdat
.Lfunc_end71:
	.size	_ZN9rocsparseL19coomvn_atomic_loopsILj256ELj2Ei18rocsparse_bfloat16S1_ffEEvlNS_24const_host_device_scalarIT5_EEPKT1_S7_PKT2_PKT3_PT4_21rocsparse_index_base_b, .Lfunc_end71-_ZN9rocsparseL19coomvn_atomic_loopsILj256ELj2Ei18rocsparse_bfloat16S1_ffEEvlNS_24const_host_device_scalarIT5_EEPKT1_S7_PKT2_PKT3_PT4_21rocsparse_index_base_b
                                        ; -- End function
	.set _ZN9rocsparseL19coomvn_atomic_loopsILj256ELj2Ei18rocsparse_bfloat16S1_ffEEvlNS_24const_host_device_scalarIT5_EEPKT1_S7_PKT2_PKT3_PT4_21rocsparse_index_base_b.num_vgpr, 20
	.set _ZN9rocsparseL19coomvn_atomic_loopsILj256ELj2Ei18rocsparse_bfloat16S1_ffEEvlNS_24const_host_device_scalarIT5_EEPKT1_S7_PKT2_PKT3_PT4_21rocsparse_index_base_b.num_agpr, 0
	.set _ZN9rocsparseL19coomvn_atomic_loopsILj256ELj2Ei18rocsparse_bfloat16S1_ffEEvlNS_24const_host_device_scalarIT5_EEPKT1_S7_PKT2_PKT3_PT4_21rocsparse_index_base_b.numbered_sgpr, 26
	.set _ZN9rocsparseL19coomvn_atomic_loopsILj256ELj2Ei18rocsparse_bfloat16S1_ffEEvlNS_24const_host_device_scalarIT5_EEPKT1_S7_PKT2_PKT3_PT4_21rocsparse_index_base_b.num_named_barrier, 0
	.set _ZN9rocsparseL19coomvn_atomic_loopsILj256ELj2Ei18rocsparse_bfloat16S1_ffEEvlNS_24const_host_device_scalarIT5_EEPKT1_S7_PKT2_PKT3_PT4_21rocsparse_index_base_b.private_seg_size, 0
	.set _ZN9rocsparseL19coomvn_atomic_loopsILj256ELj2Ei18rocsparse_bfloat16S1_ffEEvlNS_24const_host_device_scalarIT5_EEPKT1_S7_PKT2_PKT3_PT4_21rocsparse_index_base_b.uses_vcc, 1
	.set _ZN9rocsparseL19coomvn_atomic_loopsILj256ELj2Ei18rocsparse_bfloat16S1_ffEEvlNS_24const_host_device_scalarIT5_EEPKT1_S7_PKT2_PKT3_PT4_21rocsparse_index_base_b.uses_flat_scratch, 0
	.set _ZN9rocsparseL19coomvn_atomic_loopsILj256ELj2Ei18rocsparse_bfloat16S1_ffEEvlNS_24const_host_device_scalarIT5_EEPKT1_S7_PKT2_PKT3_PT4_21rocsparse_index_base_b.has_dyn_sized_stack, 0
	.set _ZN9rocsparseL19coomvn_atomic_loopsILj256ELj2Ei18rocsparse_bfloat16S1_ffEEvlNS_24const_host_device_scalarIT5_EEPKT1_S7_PKT2_PKT3_PT4_21rocsparse_index_base_b.has_recursion, 0
	.set _ZN9rocsparseL19coomvn_atomic_loopsILj256ELj2Ei18rocsparse_bfloat16S1_ffEEvlNS_24const_host_device_scalarIT5_EEPKT1_S7_PKT2_PKT3_PT4_21rocsparse_index_base_b.has_indirect_call, 0
	.section	.AMDGPU.csdata,"",@progbits
; Kernel info:
; codeLenInByte = 2596
; TotalNumSgprs: 28
; NumVgprs: 20
; ScratchSize: 0
; MemoryBound: 0
; FloatMode: 240
; IeeeMode: 1
; LDSByteSize: 2048 bytes/workgroup (compile time only)
; SGPRBlocks: 0
; VGPRBlocks: 1
; NumSGPRsForWavesPerEU: 28
; NumVGPRsForWavesPerEU: 20
; NamedBarCnt: 0
; Occupancy: 16
; WaveLimiterHint : 1
; COMPUTE_PGM_RSRC2:SCRATCH_EN: 0
; COMPUTE_PGM_RSRC2:USER_SGPR: 2
; COMPUTE_PGM_RSRC2:TRAP_HANDLER: 0
; COMPUTE_PGM_RSRC2:TGID_X_EN: 1
; COMPUTE_PGM_RSRC2:TGID_Y_EN: 0
; COMPUTE_PGM_RSRC2:TGID_Z_EN: 0
; COMPUTE_PGM_RSRC2:TIDIG_COMP_CNT: 0
	.section	.text._ZN9rocsparseL22coomvn_segmented_loopsILj256El18rocsparse_bfloat16S1_ffEEvlT0_NS_24const_host_device_scalarIT4_EEPKS2_S7_PKT1_PKT2_PT3_PS2_PS4_21rocsparse_index_base_b,"axG",@progbits,_ZN9rocsparseL22coomvn_segmented_loopsILj256El18rocsparse_bfloat16S1_ffEEvlT0_NS_24const_host_device_scalarIT4_EEPKS2_S7_PKT1_PKT2_PT3_PS2_PS4_21rocsparse_index_base_b,comdat
	.globl	_ZN9rocsparseL22coomvn_segmented_loopsILj256El18rocsparse_bfloat16S1_ffEEvlT0_NS_24const_host_device_scalarIT4_EEPKS2_S7_PKT1_PKT2_PT3_PS2_PS4_21rocsparse_index_base_b ; -- Begin function _ZN9rocsparseL22coomvn_segmented_loopsILj256El18rocsparse_bfloat16S1_ffEEvlT0_NS_24const_host_device_scalarIT4_EEPKS2_S7_PKT1_PKT2_PT3_PS2_PS4_21rocsparse_index_base_b
	.p2align	8
	.type	_ZN9rocsparseL22coomvn_segmented_loopsILj256El18rocsparse_bfloat16S1_ffEEvlT0_NS_24const_host_device_scalarIT4_EEPKS2_S7_PKT1_PKT2_PT3_PS2_PS4_21rocsparse_index_base_b,@function
_ZN9rocsparseL22coomvn_segmented_loopsILj256El18rocsparse_bfloat16S1_ffEEvlT0_NS_24const_host_device_scalarIT4_EEPKS2_S7_PKT1_PKT2_PT3_PS2_PS4_21rocsparse_index_base_b: ; @_ZN9rocsparseL22coomvn_segmented_loopsILj256El18rocsparse_bfloat16S1_ffEEvlT0_NS_24const_host_device_scalarIT4_EEPKS2_S7_PKT1_PKT2_PT3_PS2_PS4_21rocsparse_index_base_b
; %bb.0:
	s_clause 0x1
	s_load_b64 s[30:31], s[0:1], 0x50
	s_load_b64 s[14:15], s[0:1], 0x10
	s_wait_kmcnt 0x0
	s_bitcmp1_b32 s31, 0
	s_cselect_b32 s2, -1, 0
	s_delay_alu instid0(SALU_CYCLE_1)
	s_and_b32 vcc_lo, exec_lo, s2
	s_cbranch_vccnz .LBB72_2
; %bb.1:
	s_load_b32 s14, s[14:15], 0x0
.LBB72_2:
	s_wait_kmcnt 0x0
	s_cmp_eq_f32 s14, 0
	s_mov_b32 s29, 0
	s_cbranch_scc1 .LBB72_89
; %bb.3:
	s_load_b128 s[24:27], s[0:1], 0x0
	s_bfe_u32 s2, ttmp6, 0x4000c
	s_load_b256 s[16:23], s[0:1], 0x18
	s_add_co_i32 s2, s2, 1
	s_and_b32 s3, ttmp6, 15
	s_mul_i32 s2, ttmp9, s2
	s_getreg_b32 s4, hwreg(HW_REG_IB_STS2, 6, 4)
	s_add_co_i32 s3, s3, s2
	s_cmp_eq_u32 s4, 0
	v_mov_b64_e32 v[2:3], -1
	s_cselect_b32 s28, ttmp9, s3
	v_mov_b32_e32 v6, 0
	s_wait_kmcnt 0x0
	s_mul_u64 s[36:37], s[28:29], s[26:27]
	s_delay_alu instid0(SALU_CYCLE_1) | instskip(NEXT) | instid1(SALU_CYCLE_1)
	s_lshl_b64 s[2:3], s[36:37], 8
	v_dual_mov_b32 v5, s3 :: v_dual_bitop2_b32 v4, s2, v0 bitop3:0x54
	s_mov_b32 s2, exec_lo
	s_delay_alu instid0(VALU_DEP_1)
	v_cmpx_gt_i64_e64 s[24:25], v[4:5]
	s_cbranch_execz .LBB72_5
; %bb.4:
	v_lshlrev_b64_e32 v[2:3], 3, v[4:5]
	s_mov_b32 s31, 0
	s_delay_alu instid0(VALU_DEP_1)
	v_add_nc_u64_e32 v[6:7], s[16:17], v[2:3]
	v_add_nc_u64_e32 v[2:3], s[18:19], v[2:3]
	global_load_b64 v[8:9], v[6:7], off th:TH_LOAD_NT
	global_load_b64 v[10:11], v[2:3], off th:TH_LOAD_NT
	s_wait_loadcnt 0x1
	s_wait_xcnt 0x0
	v_sub_nc_u64_e64 v[2:3], v[8:9], s[30:31]
	s_wait_loadcnt 0x0
	v_lshl_add_u64 v[6:7], v[10:11], 1, s[22:23]
	s_ashr_i32 s31, s30, 31
	v_lshl_add_u64 v[8:9], v[4:5], 1, s[20:21]
	s_lshl_b64 s[4:5], s[30:31], 1
	s_delay_alu instid0(VALU_DEP_2) | instid1(SALU_CYCLE_1)
	v_sub_nc_u64_e64 v[6:7], v[6:7], s[4:5]
	global_load_u16 v1, v[8:9], off
	global_load_u16 v10, v[6:7], off
	s_wait_loadcnt 0x0
	v_dual_lshlrev_b32 v1, 16, v1 :: v_dual_lshlrev_b32 v6, 16, v10
	s_delay_alu instid0(VALU_DEP_1)
	v_mul_f32_e32 v6, v6, v1
.LBB72_5:
	s_or_b32 exec_lo, exec_lo, s2
	v_dual_lshlrev_b32 v7, 2, v0 :: v_dual_lshlrev_b32 v1, 3, v0
	v_cmp_eq_u32_e64 s2, 0, v0
	v_cmp_ne_u32_e64 s3, 0, v0
	ds_store_b64 v1, v[2:3]
	ds_store_b32 v7, v6 offset:2048
	v_or_b32_e32 v16, 0x800, v7
	v_add_nc_u32_e32 v17, -8, v1
	s_wait_dscnt 0x0
	s_barrier_signal -1
	s_barrier_wait -1
	s_and_saveexec_b32 s4, s3
	s_cbranch_execz .LBB72_9
; %bb.6:
	ds_load_b64 v[8:9], v17
	s_mov_b32 s5, exec_lo
	s_wait_dscnt 0x0
	v_cmpx_eq_u64_e64 v[2:3], v[8:9]
	s_cbranch_execz .LBB72_8
; %bb.7:
	v_add_nc_u32_e32 v7, -4, v16
	ds_load_b32 v7, v7
	s_wait_dscnt 0x0
	v_add_f32_e32 v6, v6, v7
.LBB72_8:
	s_or_b32 exec_lo, exec_lo, s5
.LBB72_9:
	s_delay_alu instid0(SALU_CYCLE_1)
	s_or_b32 exec_lo, exec_lo, s4
	v_cmp_lt_u32_e64 s4, 1, v0
	v_add_nc_u32_e32 v18, -16, v1
	s_barrier_signal -1
	s_barrier_wait -1
	ds_store_b32 v16, v6
	s_wait_dscnt 0x0
	s_barrier_signal -1
	s_barrier_wait -1
	s_and_saveexec_b32 s5, s4
	s_cbranch_execz .LBB72_13
; %bb.10:
	ds_load_b64 v[8:9], v18
	s_mov_b32 s6, exec_lo
	s_wait_dscnt 0x0
	v_cmpx_eq_u64_e64 v[2:3], v[8:9]
	s_cbranch_execz .LBB72_12
; %bb.11:
	v_add_nc_u32_e32 v7, -8, v16
	ds_load_b32 v7, v7
	s_wait_dscnt 0x0
	v_add_f32_e32 v6, v6, v7
.LBB72_12:
	s_or_b32 exec_lo, exec_lo, s6
.LBB72_13:
	s_delay_alu instid0(SALU_CYCLE_1)
	s_or_b32 exec_lo, exec_lo, s5
	v_cmp_lt_u32_e64 s5, 3, v0
	v_subrev_nc_u32_e32 v19, 32, v1
	s_barrier_signal -1
	s_barrier_wait -1
	ds_store_b32 v16, v6
	s_wait_dscnt 0x0
	s_barrier_signal -1
	s_barrier_wait -1
	s_and_saveexec_b32 s6, s5
	s_cbranch_execz .LBB72_17
; %bb.14:
	ds_load_b64 v[8:9], v19
	s_mov_b32 s7, exec_lo
	s_wait_dscnt 0x0
	v_cmpx_eq_u64_e64 v[2:3], v[8:9]
	s_cbranch_execz .LBB72_16
; %bb.15:
	v_add_nc_u32_e32 v7, -16, v16
	ds_load_b32 v7, v7
	s_wait_dscnt 0x0
	v_add_f32_e32 v6, v6, v7
.LBB72_16:
	s_or_b32 exec_lo, exec_lo, s7
.LBB72_17:
	s_delay_alu instid0(SALU_CYCLE_1)
	s_or_b32 exec_lo, exec_lo, s6
	v_cmp_lt_u32_e64 s6, 7, v0
	v_subrev_nc_u32_e32 v20, 64, v1
	s_barrier_signal -1
	s_barrier_wait -1
	ds_store_b32 v16, v6
	s_wait_dscnt 0x0
	s_barrier_signal -1
	s_barrier_wait -1
	s_and_saveexec_b32 s7, s6
	s_cbranch_execz .LBB72_21
; %bb.18:
	ds_load_b64 v[8:9], v20
	s_mov_b32 s8, exec_lo
	s_wait_dscnt 0x0
	v_cmpx_eq_u64_e64 v[2:3], v[8:9]
	s_cbranch_execz .LBB72_20
; %bb.19:
	v_subrev_nc_u32_e32 v7, 32, v16
	ds_load_b32 v7, v7
	s_wait_dscnt 0x0
	v_add_f32_e32 v6, v6, v7
.LBB72_20:
	s_or_b32 exec_lo, exec_lo, s8
.LBB72_21:
	s_delay_alu instid0(SALU_CYCLE_1)
	s_or_b32 exec_lo, exec_lo, s7
	v_cmp_lt_u32_e64 s7, 15, v0
	v_add_nc_u32_e32 v21, 0xffffff80, v1
	s_barrier_signal -1
	s_barrier_wait -1
	ds_store_b32 v16, v6
	s_wait_dscnt 0x0
	s_barrier_signal -1
	s_barrier_wait -1
	s_and_saveexec_b32 s8, s7
	s_cbranch_execz .LBB72_25
; %bb.22:
	ds_load_b64 v[8:9], v21
	s_mov_b32 s9, exec_lo
	s_wait_dscnt 0x0
	v_cmpx_eq_u64_e64 v[2:3], v[8:9]
	s_cbranch_execz .LBB72_24
; %bb.23:
	v_subrev_nc_u32_e32 v7, 64, v16
	ds_load_b32 v7, v7
	s_wait_dscnt 0x0
	v_add_f32_e32 v6, v6, v7
.LBB72_24:
	s_or_b32 exec_lo, exec_lo, s9
.LBB72_25:
	s_delay_alu instid0(SALU_CYCLE_1)
	s_or_b32 exec_lo, exec_lo, s8
	v_cmp_lt_u32_e64 s8, 31, v0
	v_add_nc_u32_e32 v22, 0xffffff00, v1
	s_barrier_signal -1
	s_barrier_wait -1
	ds_store_b32 v16, v6
	s_wait_dscnt 0x0
	s_barrier_signal -1
	s_barrier_wait -1
	s_and_saveexec_b32 s9, s8
	s_cbranch_execz .LBB72_29
; %bb.26:
	ds_load_b64 v[8:9], v22
	s_mov_b32 s10, exec_lo
	s_wait_dscnt 0x0
	v_cmpx_eq_u64_e64 v[2:3], v[8:9]
	s_cbranch_execz .LBB72_28
; %bb.27:
	v_add_nc_u32_e32 v7, 0xffffff80, v16
	ds_load_b32 v7, v7
	s_wait_dscnt 0x0
	v_add_f32_e32 v6, v6, v7
.LBB72_28:
	s_or_b32 exec_lo, exec_lo, s10
.LBB72_29:
	s_delay_alu instid0(SALU_CYCLE_1)
	s_or_b32 exec_lo, exec_lo, s9
	v_cmp_lt_u32_e64 s9, 63, v0
	v_add_nc_u32_e32 v23, 0xfffffe00, v1
	s_barrier_signal -1
	s_barrier_wait -1
	ds_store_b32 v16, v6
	s_wait_dscnt 0x0
	s_barrier_signal -1
	s_barrier_wait -1
	s_and_saveexec_b32 s10, s9
	s_cbranch_execz .LBB72_33
; %bb.30:
	ds_load_b64 v[8:9], v23
	s_mov_b32 s11, exec_lo
	s_wait_dscnt 0x0
	v_cmpx_eq_u64_e64 v[2:3], v[8:9]
	s_cbranch_execz .LBB72_32
; %bb.31:
	v_add_nc_u32_e32 v7, 0xffffff00, v16
	ds_load_b32 v7, v7
	s_wait_dscnt 0x0
	v_add_f32_e32 v6, v6, v7
.LBB72_32:
	s_or_b32 exec_lo, exec_lo, s11
.LBB72_33:
	;; [unrolled: 26-line block ×3, first 2 shown]
	s_delay_alu instid0(SALU_CYCLE_1)
	s_or_b32 exec_lo, exec_lo, s11
	s_load_b64 s[34:35], s[0:1], 0x38
	v_cmp_gt_u32_e64 s11, 0xff, v0
	s_barrier_signal -1
	s_barrier_wait -1
	ds_store_b32 v16, v6
	s_wait_dscnt 0x0
	s_barrier_signal -1
	s_barrier_wait -1
	s_and_saveexec_b32 s13, s11
	s_cbranch_execz .LBB72_40
; %bb.38:
	ds_load_b64 v[8:9], v1 offset:8
	v_cmp_lt_i64_e64 s12, -1, v[2:3]
	s_wait_dscnt 0x0
	v_cmp_ne_u64_e32 vcc_lo, v[2:3], v[8:9]
	s_and_b32 s12, s12, vcc_lo
	s_delay_alu instid0(SALU_CYCLE_1)
	s_and_b32 exec_lo, exec_lo, s12
	s_cbranch_execz .LBB72_40
; %bb.39:
	s_wait_kmcnt 0x0
	v_lshl_add_u64 v[8:9], v[2:3], 2, s[34:35]
	global_load_b32 v7, v[8:9], off
	s_wait_loadcnt 0x0
	v_fmac_f32_e32 v7, s14, v6
	global_store_b32 v[8:9], v7, off
.LBB72_40:
	s_wait_xcnt 0x0
	s_or_b32 exec_lo, exec_lo, s13
	v_cmp_lt_i64_e64 s12, s[26:27], 2
	s_and_b32 vcc_lo, exec_lo, s12
	s_cbranch_vccnz .LBB72_87
; %bb.41:
	s_lshl_b64 s[38:39], s[36:37], 11
	v_dual_mov_b32 v7, 0 :: v_dual_add_nc_u32 v25, -4, v16
	v_lshl_or_b32 v2, v0, 3, s38
	v_dual_mov_b32 v3, s39 :: v_dual_lshlrev_b32 v6, 1, v0
	s_lshl_b64 s[36:37], s[36:37], 9
	v_add_nc_u64_e32 v[4:5], 0x100, v[4:5]
	s_add_nc_u64 s[20:21], s[20:21], s[36:37]
	s_delay_alu instid0(VALU_DEP_2)
	v_add_nc_u64_e32 v[2:3], 0x800, v[2:3]
	v_add_nc_u64_e32 v[10:11], s[20:21], v[6:7]
	s_ashr_i32 s13, s30, 31
	s_mov_b32 s12, s30
	v_dual_add_nc_u32 v26, -8, v16 :: v_dual_add_nc_u32 v27, -16, v16
	v_subrev_nc_u32_e32 v28, 32, v16
	s_delay_alu instid0(VALU_DEP_4) | instskip(NEXT) | instid1(VALU_DEP_4)
	v_add_nc_u64_e32 v[8:9], s[18:19], v[2:3]
	v_add_nc_u64_e32 v[10:11], 0x200, v[10:11]
	;; [unrolled: 1-line block ×3, first 2 shown]
	v_subrev_nc_u32_e32 v29, 64, v16
	v_add_nc_u32_e32 v30, 0xffffff80, v16
	v_add_nc_u32_e32 v31, 0xffffff00, v16
	;; [unrolled: 1-line block ×3, first 2 shown]
	s_lshl_b64 s[12:13], s[12:13], 1
	s_add_nc_u64 s[26:27], s[26:27], -1
	s_mov_b32 s31, 0
	s_sub_nc_u64 s[16:17], s[22:23], s[12:13]
	s_mov_b64 s[18:19], 0
	s_branch .LBB72_43
.LBB72_42:                              ;   in Loop: Header=BB72_43 Depth=1
	s_wait_xcnt 0x0
	s_or_b32 exec_lo, exec_lo, s13
	s_add_nc_u64 s[18:19], s[18:19], 1
	v_add_nc_u64_e32 v[8:9], 0x800, v[8:9]
	v_cmp_le_u64_e64 s12, s[26:27], s[18:19]
	v_add_nc_u64_e32 v[10:11], 0x200, v[10:11]
	v_add_nc_u64_e32 v[12:13], 0x800, v[12:13]
	;; [unrolled: 1-line block ×3, first 2 shown]
	s_and_b32 vcc_lo, exec_lo, s12
	s_cbranch_vccnz .LBB72_87
.LBB72_43:                              ; =>This Inner Loop Header: Depth=1
	v_mov_b64_e32 v[2:3], -1
	v_mov_b32_e32 v6, 0
	s_mov_b32 s12, exec_lo
	s_delay_alu instid0(VALU_DEP_3)
	v_cmpx_gt_i64_e64 s[24:25], v[4:5]
	s_cbranch_execz .LBB72_45
; %bb.44:                               ;   in Loop: Header=BB72_43 Depth=1
	global_load_b64 v[2:3], v[8:9], off th:TH_LOAD_NT
	s_wait_loadcnt 0x0
	v_lshl_add_u64 v[2:3], v[2:3], 1, s[16:17]
	global_load_u16 v6, v[2:3], off
	global_load_u16 v33, v[10:11], off
	global_load_b64 v[14:15], v[12:13], off th:TH_LOAD_NT
	s_wait_loadcnt 0x1
	v_dual_lshlrev_b32 v6, 16, v6 :: v_dual_lshlrev_b32 v33, 16, v33
	s_wait_loadcnt 0x0
	s_wait_xcnt 0x2
	v_sub_nc_u64_e64 v[2:3], v[14:15], s[30:31]
	s_delay_alu instid0(VALU_DEP_2)
	v_mul_f32_e32 v6, v6, v33
.LBB72_45:                              ;   in Loop: Header=BB72_43 Depth=1
	s_wait_xcnt 0x0
	s_or_b32 exec_lo, exec_lo, s12
	s_and_saveexec_b32 s12, s2
	s_cbranch_execz .LBB72_52
; %bb.46:                               ;   in Loop: Header=BB72_43 Depth=1
	ds_load_b64 v[14:15], v7 offset:2040
	s_mov_b32 s13, exec_lo
	s_wait_dscnt 0x0
	v_cmpx_ne_u64_e64 v[2:3], v[14:15]
	s_xor_b32 s13, exec_lo, s13
	s_cbranch_execz .LBB72_49
; %bb.47:                               ;   in Loop: Header=BB72_43 Depth=1
	v_cmp_gt_i64_e32 vcc_lo, 0, v[14:15]
	s_cbranch_vccnz .LBB72_49
; %bb.48:                               ;   in Loop: Header=BB72_43 Depth=1
	v_lshlrev_b64_e32 v[14:15], 2, v[14:15]
	ds_load_b32 v34, v7 offset:3068
	s_wait_kmcnt 0x0
	v_add_nc_u64_e32 v[14:15], s[34:35], v[14:15]
	global_load_b32 v33, v[14:15], off
	s_wait_loadcnt_dscnt 0x0
	v_fmac_f32_e32 v33, s14, v34
	global_store_b32 v[14:15], v33, off
.LBB72_49:                              ;   in Loop: Header=BB72_43 Depth=1
	s_wait_xcnt 0x0
	s_and_not1_saveexec_b32 s13, s13
	s_cbranch_execz .LBB72_51
; %bb.50:                               ;   in Loop: Header=BB72_43 Depth=1
	ds_load_b32 v14, v7 offset:3068
	s_wait_dscnt 0x0
	v_add_f32_e32 v6, v6, v14
.LBB72_51:                              ;   in Loop: Header=BB72_43 Depth=1
	s_or_b32 exec_lo, exec_lo, s13
.LBB72_52:                              ;   in Loop: Header=BB72_43 Depth=1
	s_delay_alu instid0(SALU_CYCLE_1)
	s_or_b32 exec_lo, exec_lo, s12
	s_wait_storecnt 0x0
	s_barrier_signal -1
	s_barrier_wait -1
	ds_store_b64 v1, v[2:3]
	ds_store_b32 v16, v6
	s_wait_dscnt 0x0
	s_barrier_signal -1
	s_barrier_wait -1
	s_and_saveexec_b32 s12, s3
	s_cbranch_execz .LBB72_56
; %bb.53:                               ;   in Loop: Header=BB72_43 Depth=1
	ds_load_b64 v[14:15], v17
	s_mov_b32 s13, exec_lo
	s_wait_dscnt 0x0
	v_cmpx_eq_u64_e64 v[2:3], v[14:15]
	s_cbranch_execz .LBB72_55
; %bb.54:                               ;   in Loop: Header=BB72_43 Depth=1
	ds_load_b32 v14, v25
	s_wait_dscnt 0x0
	v_add_f32_e32 v6, v6, v14
.LBB72_55:                              ;   in Loop: Header=BB72_43 Depth=1
	s_or_b32 exec_lo, exec_lo, s13
.LBB72_56:                              ;   in Loop: Header=BB72_43 Depth=1
	s_delay_alu instid0(SALU_CYCLE_1)
	s_or_b32 exec_lo, exec_lo, s12
	s_barrier_signal -1
	s_barrier_wait -1
	ds_store_b32 v16, v6
	s_wait_dscnt 0x0
	s_barrier_signal -1
	s_barrier_wait -1
	s_and_saveexec_b32 s12, s4
	s_cbranch_execz .LBB72_60
; %bb.57:                               ;   in Loop: Header=BB72_43 Depth=1
	ds_load_b64 v[14:15], v18
	s_mov_b32 s13, exec_lo
	s_wait_dscnt 0x0
	v_cmpx_eq_u64_e64 v[2:3], v[14:15]
	s_cbranch_execz .LBB72_59
; %bb.58:                               ;   in Loop: Header=BB72_43 Depth=1
	ds_load_b32 v14, v26
	s_wait_dscnt 0x0
	v_add_f32_e32 v6, v6, v14
.LBB72_59:                              ;   in Loop: Header=BB72_43 Depth=1
	s_or_b32 exec_lo, exec_lo, s13
.LBB72_60:                              ;   in Loop: Header=BB72_43 Depth=1
	s_delay_alu instid0(SALU_CYCLE_1)
	s_or_b32 exec_lo, exec_lo, s12
	s_barrier_signal -1
	s_barrier_wait -1
	;; [unrolled: 23-line block ×8, first 2 shown]
	ds_store_b32 v16, v6
	s_wait_dscnt 0x0
	s_barrier_signal -1
	s_barrier_wait -1
	s_and_saveexec_b32 s13, s11
	s_cbranch_execz .LBB72_42
; %bb.85:                               ;   in Loop: Header=BB72_43 Depth=1
	ds_load_b64 v[14:15], v1 offset:8
	v_cmp_lt_i64_e64 s12, -1, v[2:3]
	s_wait_dscnt 0x0
	v_cmp_ne_u64_e32 vcc_lo, v[2:3], v[14:15]
	s_and_b32 s12, s12, vcc_lo
	s_delay_alu instid0(SALU_CYCLE_1)
	s_and_b32 exec_lo, exec_lo, s12
	s_cbranch_execz .LBB72_42
; %bb.86:                               ;   in Loop: Header=BB72_43 Depth=1
	s_wait_kmcnt 0x0
	v_lshl_add_u64 v[14:15], v[2:3], 2, s[34:35]
	global_load_b32 v33, v[14:15], off
	s_wait_loadcnt 0x0
	v_fmac_f32_e32 v33, s14, v6
	global_store_b32 v[14:15], v33, off
	s_branch .LBB72_42
.LBB72_87:
	s_load_b128 s[4:7], s[0:1], 0x40
	s_wait_xcnt 0x0
	s_mov_b32 s0, exec_lo
	v_cmpx_eq_u32_e32 0xff, v0
	s_cbranch_execz .LBB72_89
; %bb.88:
	v_dual_mov_b32 v0, 0 :: v_dual_mul_f32 v1, s14, v6
	s_lshl_b64 s[0:1], s[28:29], 3
	s_lshl_b64 s[2:3], s[28:29], 2
	s_wait_kmcnt 0x0
	s_add_nc_u64 s[0:1], s[4:5], s[0:1]
	s_add_nc_u64 s[2:3], s[6:7], s[2:3]
	s_clause 0x1
	global_store_b64 v0, v[2:3], s[0:1] th:TH_STORE_NT
	global_store_b32 v0, v1, s[2:3] th:TH_STORE_NT
.LBB72_89:
	s_endpgm
	.section	.rodata,"a",@progbits
	.p2align	6, 0x0
	.amdhsa_kernel _ZN9rocsparseL22coomvn_segmented_loopsILj256El18rocsparse_bfloat16S1_ffEEvlT0_NS_24const_host_device_scalarIT4_EEPKS2_S7_PKT1_PKT2_PT3_PS2_PS4_21rocsparse_index_base_b
		.amdhsa_group_segment_fixed_size 3072
		.amdhsa_private_segment_fixed_size 0
		.amdhsa_kernarg_size 88
		.amdhsa_user_sgpr_count 2
		.amdhsa_user_sgpr_dispatch_ptr 0
		.amdhsa_user_sgpr_queue_ptr 0
		.amdhsa_user_sgpr_kernarg_segment_ptr 1
		.amdhsa_user_sgpr_dispatch_id 0
		.amdhsa_user_sgpr_kernarg_preload_length 0
		.amdhsa_user_sgpr_kernarg_preload_offset 0
		.amdhsa_user_sgpr_private_segment_size 0
		.amdhsa_wavefront_size32 1
		.amdhsa_uses_dynamic_stack 0
		.amdhsa_enable_private_segment 0
		.amdhsa_system_sgpr_workgroup_id_x 1
		.amdhsa_system_sgpr_workgroup_id_y 0
		.amdhsa_system_sgpr_workgroup_id_z 0
		.amdhsa_system_sgpr_workgroup_info 0
		.amdhsa_system_vgpr_workitem_id 0
		.amdhsa_next_free_vgpr 35
		.amdhsa_next_free_sgpr 40
		.amdhsa_named_barrier_count 0
		.amdhsa_reserve_vcc 1
		.amdhsa_float_round_mode_32 0
		.amdhsa_float_round_mode_16_64 0
		.amdhsa_float_denorm_mode_32 3
		.amdhsa_float_denorm_mode_16_64 3
		.amdhsa_fp16_overflow 0
		.amdhsa_memory_ordered 1
		.amdhsa_forward_progress 1
		.amdhsa_inst_pref_size 23
		.amdhsa_round_robin_scheduling 0
		.amdhsa_exception_fp_ieee_invalid_op 0
		.amdhsa_exception_fp_denorm_src 0
		.amdhsa_exception_fp_ieee_div_zero 0
		.amdhsa_exception_fp_ieee_overflow 0
		.amdhsa_exception_fp_ieee_underflow 0
		.amdhsa_exception_fp_ieee_inexact 0
		.amdhsa_exception_int_div_zero 0
	.end_amdhsa_kernel
	.section	.text._ZN9rocsparseL22coomvn_segmented_loopsILj256El18rocsparse_bfloat16S1_ffEEvlT0_NS_24const_host_device_scalarIT4_EEPKS2_S7_PKT1_PKT2_PT3_PS2_PS4_21rocsparse_index_base_b,"axG",@progbits,_ZN9rocsparseL22coomvn_segmented_loopsILj256El18rocsparse_bfloat16S1_ffEEvlT0_NS_24const_host_device_scalarIT4_EEPKS2_S7_PKT1_PKT2_PT3_PS2_PS4_21rocsparse_index_base_b,comdat
.Lfunc_end72:
	.size	_ZN9rocsparseL22coomvn_segmented_loopsILj256El18rocsparse_bfloat16S1_ffEEvlT0_NS_24const_host_device_scalarIT4_EEPKS2_S7_PKT1_PKT2_PT3_PS2_PS4_21rocsparse_index_base_b, .Lfunc_end72-_ZN9rocsparseL22coomvn_segmented_loopsILj256El18rocsparse_bfloat16S1_ffEEvlT0_NS_24const_host_device_scalarIT4_EEPKS2_S7_PKT1_PKT2_PT3_PS2_PS4_21rocsparse_index_base_b
                                        ; -- End function
	.set _ZN9rocsparseL22coomvn_segmented_loopsILj256El18rocsparse_bfloat16S1_ffEEvlT0_NS_24const_host_device_scalarIT4_EEPKS2_S7_PKT1_PKT2_PT3_PS2_PS4_21rocsparse_index_base_b.num_vgpr, 35
	.set _ZN9rocsparseL22coomvn_segmented_loopsILj256El18rocsparse_bfloat16S1_ffEEvlT0_NS_24const_host_device_scalarIT4_EEPKS2_S7_PKT1_PKT2_PT3_PS2_PS4_21rocsparse_index_base_b.num_agpr, 0
	.set _ZN9rocsparseL22coomvn_segmented_loopsILj256El18rocsparse_bfloat16S1_ffEEvlT0_NS_24const_host_device_scalarIT4_EEPKS2_S7_PKT1_PKT2_PT3_PS2_PS4_21rocsparse_index_base_b.numbered_sgpr, 40
	.set _ZN9rocsparseL22coomvn_segmented_loopsILj256El18rocsparse_bfloat16S1_ffEEvlT0_NS_24const_host_device_scalarIT4_EEPKS2_S7_PKT1_PKT2_PT3_PS2_PS4_21rocsparse_index_base_b.num_named_barrier, 0
	.set _ZN9rocsparseL22coomvn_segmented_loopsILj256El18rocsparse_bfloat16S1_ffEEvlT0_NS_24const_host_device_scalarIT4_EEPKS2_S7_PKT1_PKT2_PT3_PS2_PS4_21rocsparse_index_base_b.private_seg_size, 0
	.set _ZN9rocsparseL22coomvn_segmented_loopsILj256El18rocsparse_bfloat16S1_ffEEvlT0_NS_24const_host_device_scalarIT4_EEPKS2_S7_PKT1_PKT2_PT3_PS2_PS4_21rocsparse_index_base_b.uses_vcc, 1
	.set _ZN9rocsparseL22coomvn_segmented_loopsILj256El18rocsparse_bfloat16S1_ffEEvlT0_NS_24const_host_device_scalarIT4_EEPKS2_S7_PKT1_PKT2_PT3_PS2_PS4_21rocsparse_index_base_b.uses_flat_scratch, 0
	.set _ZN9rocsparseL22coomvn_segmented_loopsILj256El18rocsparse_bfloat16S1_ffEEvlT0_NS_24const_host_device_scalarIT4_EEPKS2_S7_PKT1_PKT2_PT3_PS2_PS4_21rocsparse_index_base_b.has_dyn_sized_stack, 0
	.set _ZN9rocsparseL22coomvn_segmented_loopsILj256El18rocsparse_bfloat16S1_ffEEvlT0_NS_24const_host_device_scalarIT4_EEPKS2_S7_PKT1_PKT2_PT3_PS2_PS4_21rocsparse_index_base_b.has_recursion, 0
	.set _ZN9rocsparseL22coomvn_segmented_loopsILj256El18rocsparse_bfloat16S1_ffEEvlT0_NS_24const_host_device_scalarIT4_EEPKS2_S7_PKT1_PKT2_PT3_PS2_PS4_21rocsparse_index_base_b.has_indirect_call, 0
	.section	.AMDGPU.csdata,"",@progbits
; Kernel info:
; codeLenInByte = 2872
; TotalNumSgprs: 42
; NumVgprs: 35
; ScratchSize: 0
; MemoryBound: 0
; FloatMode: 240
; IeeeMode: 1
; LDSByteSize: 3072 bytes/workgroup (compile time only)
; SGPRBlocks: 0
; VGPRBlocks: 2
; NumSGPRsForWavesPerEU: 42
; NumVGPRsForWavesPerEU: 35
; NamedBarCnt: 0
; Occupancy: 16
; WaveLimiterHint : 1
; COMPUTE_PGM_RSRC2:SCRATCH_EN: 0
; COMPUTE_PGM_RSRC2:USER_SGPR: 2
; COMPUTE_PGM_RSRC2:TRAP_HANDLER: 0
; COMPUTE_PGM_RSRC2:TGID_X_EN: 1
; COMPUTE_PGM_RSRC2:TGID_Y_EN: 0
; COMPUTE_PGM_RSRC2:TGID_Z_EN: 0
; COMPUTE_PGM_RSRC2:TIDIG_COMP_CNT: 0
	.section	.text._ZN9rocsparseL13coomvt_kernelILj1024El18rocsparse_bfloat16S1_ffEEv20rocsparse_operation_lNS_24const_host_device_scalarIT4_EEPKT0_S8_PKT1_PKT2_PT3_21rocsparse_index_base_b,"axG",@progbits,_ZN9rocsparseL13coomvt_kernelILj1024El18rocsparse_bfloat16S1_ffEEv20rocsparse_operation_lNS_24const_host_device_scalarIT4_EEPKT0_S8_PKT1_PKT2_PT3_21rocsparse_index_base_b,comdat
	.globl	_ZN9rocsparseL13coomvt_kernelILj1024El18rocsparse_bfloat16S1_ffEEv20rocsparse_operation_lNS_24const_host_device_scalarIT4_EEPKT0_S8_PKT1_PKT2_PT3_21rocsparse_index_base_b ; -- Begin function _ZN9rocsparseL13coomvt_kernelILj1024El18rocsparse_bfloat16S1_ffEEv20rocsparse_operation_lNS_24const_host_device_scalarIT4_EEPKT0_S8_PKT1_PKT2_PT3_21rocsparse_index_base_b
	.p2align	8
	.type	_ZN9rocsparseL13coomvt_kernelILj1024El18rocsparse_bfloat16S1_ffEEv20rocsparse_operation_lNS_24const_host_device_scalarIT4_EEPKT0_S8_PKT1_PKT2_PT3_21rocsparse_index_base_b,@function
_ZN9rocsparseL13coomvt_kernelILj1024El18rocsparse_bfloat16S1_ffEEv20rocsparse_operation_lNS_24const_host_device_scalarIT4_EEPKT0_S8_PKT1_PKT2_PT3_21rocsparse_index_base_b: ; @_ZN9rocsparseL13coomvt_kernelILj1024El18rocsparse_bfloat16S1_ffEEv20rocsparse_operation_lNS_24const_host_device_scalarIT4_EEPKT0_S8_PKT1_PKT2_PT3_21rocsparse_index_base_b
; %bb.0:
	s_clause 0x1
	s_load_b64 s[2:3], s[0:1], 0x40
	s_load_b128 s[4:7], s[0:1], 0x8
	s_wait_kmcnt 0x0
	s_bitcmp1_b32 s3, 0
	s_cselect_b32 s3, -1, 0
	s_delay_alu instid0(SALU_CYCLE_1)
	s_and_b32 vcc_lo, exec_lo, s3
	s_cbranch_vccnz .LBB73_2
; %bb.1:
	s_load_b32 s6, s[6:7], 0x0
.LBB73_2:
	s_wait_kmcnt 0x0
	s_cmp_eq_f32 s6, 0
	s_cbranch_scc1 .LBB73_5
; %bb.3:
	s_load_b32 s3, s[0:1], 0x54
	s_bfe_u32 s7, ttmp6, 0x4000c
	s_and_b32 s8, ttmp6, 15
	s_add_co_i32 s7, s7, 1
	s_getreg_b32 s9, hwreg(HW_REG_IB_STS2, 6, 4)
	s_mul_i32 s7, ttmp9, s7
	v_mov_b32_e32 v1, 0
	s_add_co_i32 s8, s8, s7
	s_wait_kmcnt 0x0
	s_and_b32 s3, s3, 0xffff
	s_cmp_eq_u32 s9, 0
	s_cselect_b32 s7, ttmp9, s8
	s_delay_alu instid0(SALU_CYCLE_1) | instskip(SKIP_1) | instid1(VALU_DEP_1)
	v_mad_u32 v0, s7, s3, v0
	s_mov_b32 s3, exec_lo
	v_cmpx_gt_i64_e64 s[4:5], v[0:1]
	s_cbranch_execz .LBB73_5
; %bb.4:
	s_load_b256 s[8:15], s[0:1], 0x18
	v_lshlrev_b64_e32 v[2:3], 3, v[0:1]
	s_mov_b32 s3, 0
	s_wait_xcnt 0x0
	s_load_b64 s[0:1], s[0:1], 0x38
	s_wait_kmcnt 0x0
	s_delay_alu instid0(VALU_DEP_1)
	v_add_nc_u64_e32 v[4:5], s[8:9], v[2:3]
	v_lshl_add_u64 v[0:1], v[0:1], 1, s[12:13]
	v_add_nc_u64_e32 v[2:3], s[10:11], v[2:3]
	global_load_u16 v6, v[0:1], off
	global_load_b64 v[4:5], v[4:5], off
	s_wait_loadcnt 0x0
	v_sub_nc_u64_e64 v[4:5], v[4:5], s[2:3]
	s_delay_alu instid0(VALU_DEP_1)
	v_lshl_add_u64 v[0:1], v[4:5], 1, s[14:15]
	global_load_b64 v[4:5], v[2:3], off
	global_load_u16 v7, v[0:1], off
	s_wait_xcnt 0x1
	v_lshlrev_b32_e32 v2, 16, v6
	s_wait_loadcnt 0x1
	s_wait_xcnt 0x0
	v_sub_nc_u64_e64 v[0:1], v[4:5], s[2:3]
	s_wait_loadcnt 0x0
	v_dual_mul_f32 v2, s6, v2 :: v_dual_lshlrev_b32 v3, 16, v7
	s_delay_alu instid0(VALU_DEP_1) | instskip(NEXT) | instid1(VALU_DEP_3)
	v_mul_f32_e32 v2, v2, v3
	v_lshl_add_u64 v[0:1], v[0:1], 2, s[0:1]
	global_atomic_add_f32 v[0:1], v2, off scope:SCOPE_DEV
.LBB73_5:
	s_endpgm
	.section	.rodata,"a",@progbits
	.p2align	6, 0x0
	.amdhsa_kernel _ZN9rocsparseL13coomvt_kernelILj1024El18rocsparse_bfloat16S1_ffEEv20rocsparse_operation_lNS_24const_host_device_scalarIT4_EEPKT0_S8_PKT1_PKT2_PT3_21rocsparse_index_base_b
		.amdhsa_group_segment_fixed_size 0
		.amdhsa_private_segment_fixed_size 0
		.amdhsa_kernarg_size 328
		.amdhsa_user_sgpr_count 2
		.amdhsa_user_sgpr_dispatch_ptr 0
		.amdhsa_user_sgpr_queue_ptr 0
		.amdhsa_user_sgpr_kernarg_segment_ptr 1
		.amdhsa_user_sgpr_dispatch_id 0
		.amdhsa_user_sgpr_kernarg_preload_length 0
		.amdhsa_user_sgpr_kernarg_preload_offset 0
		.amdhsa_user_sgpr_private_segment_size 0
		.amdhsa_wavefront_size32 1
		.amdhsa_uses_dynamic_stack 0
		.amdhsa_enable_private_segment 0
		.amdhsa_system_sgpr_workgroup_id_x 1
		.amdhsa_system_sgpr_workgroup_id_y 0
		.amdhsa_system_sgpr_workgroup_id_z 0
		.amdhsa_system_sgpr_workgroup_info 0
		.amdhsa_system_vgpr_workitem_id 0
		.amdhsa_next_free_vgpr 8
		.amdhsa_next_free_sgpr 16
		.amdhsa_named_barrier_count 0
		.amdhsa_reserve_vcc 1
		.amdhsa_float_round_mode_32 0
		.amdhsa_float_round_mode_16_64 0
		.amdhsa_float_denorm_mode_32 3
		.amdhsa_float_denorm_mode_16_64 3
		.amdhsa_fp16_overflow 0
		.amdhsa_memory_ordered 1
		.amdhsa_forward_progress 1
		.amdhsa_inst_pref_size 3
		.amdhsa_round_robin_scheduling 0
		.amdhsa_exception_fp_ieee_invalid_op 0
		.amdhsa_exception_fp_denorm_src 0
		.amdhsa_exception_fp_ieee_div_zero 0
		.amdhsa_exception_fp_ieee_overflow 0
		.amdhsa_exception_fp_ieee_underflow 0
		.amdhsa_exception_fp_ieee_inexact 0
		.amdhsa_exception_int_div_zero 0
	.end_amdhsa_kernel
	.section	.text._ZN9rocsparseL13coomvt_kernelILj1024El18rocsparse_bfloat16S1_ffEEv20rocsparse_operation_lNS_24const_host_device_scalarIT4_EEPKT0_S8_PKT1_PKT2_PT3_21rocsparse_index_base_b,"axG",@progbits,_ZN9rocsparseL13coomvt_kernelILj1024El18rocsparse_bfloat16S1_ffEEv20rocsparse_operation_lNS_24const_host_device_scalarIT4_EEPKT0_S8_PKT1_PKT2_PT3_21rocsparse_index_base_b,comdat
.Lfunc_end73:
	.size	_ZN9rocsparseL13coomvt_kernelILj1024El18rocsparse_bfloat16S1_ffEEv20rocsparse_operation_lNS_24const_host_device_scalarIT4_EEPKT0_S8_PKT1_PKT2_PT3_21rocsparse_index_base_b, .Lfunc_end73-_ZN9rocsparseL13coomvt_kernelILj1024El18rocsparse_bfloat16S1_ffEEv20rocsparse_operation_lNS_24const_host_device_scalarIT4_EEPKT0_S8_PKT1_PKT2_PT3_21rocsparse_index_base_b
                                        ; -- End function
	.set _ZN9rocsparseL13coomvt_kernelILj1024El18rocsparse_bfloat16S1_ffEEv20rocsparse_operation_lNS_24const_host_device_scalarIT4_EEPKT0_S8_PKT1_PKT2_PT3_21rocsparse_index_base_b.num_vgpr, 8
	.set _ZN9rocsparseL13coomvt_kernelILj1024El18rocsparse_bfloat16S1_ffEEv20rocsparse_operation_lNS_24const_host_device_scalarIT4_EEPKT0_S8_PKT1_PKT2_PT3_21rocsparse_index_base_b.num_agpr, 0
	.set _ZN9rocsparseL13coomvt_kernelILj1024El18rocsparse_bfloat16S1_ffEEv20rocsparse_operation_lNS_24const_host_device_scalarIT4_EEPKT0_S8_PKT1_PKT2_PT3_21rocsparse_index_base_b.numbered_sgpr, 16
	.set _ZN9rocsparseL13coomvt_kernelILj1024El18rocsparse_bfloat16S1_ffEEv20rocsparse_operation_lNS_24const_host_device_scalarIT4_EEPKT0_S8_PKT1_PKT2_PT3_21rocsparse_index_base_b.num_named_barrier, 0
	.set _ZN9rocsparseL13coomvt_kernelILj1024El18rocsparse_bfloat16S1_ffEEv20rocsparse_operation_lNS_24const_host_device_scalarIT4_EEPKT0_S8_PKT1_PKT2_PT3_21rocsparse_index_base_b.private_seg_size, 0
	.set _ZN9rocsparseL13coomvt_kernelILj1024El18rocsparse_bfloat16S1_ffEEv20rocsparse_operation_lNS_24const_host_device_scalarIT4_EEPKT0_S8_PKT1_PKT2_PT3_21rocsparse_index_base_b.uses_vcc, 1
	.set _ZN9rocsparseL13coomvt_kernelILj1024El18rocsparse_bfloat16S1_ffEEv20rocsparse_operation_lNS_24const_host_device_scalarIT4_EEPKT0_S8_PKT1_PKT2_PT3_21rocsparse_index_base_b.uses_flat_scratch, 0
	.set _ZN9rocsparseL13coomvt_kernelILj1024El18rocsparse_bfloat16S1_ffEEv20rocsparse_operation_lNS_24const_host_device_scalarIT4_EEPKT0_S8_PKT1_PKT2_PT3_21rocsparse_index_base_b.has_dyn_sized_stack, 0
	.set _ZN9rocsparseL13coomvt_kernelILj1024El18rocsparse_bfloat16S1_ffEEv20rocsparse_operation_lNS_24const_host_device_scalarIT4_EEPKT0_S8_PKT1_PKT2_PT3_21rocsparse_index_base_b.has_recursion, 0
	.set _ZN9rocsparseL13coomvt_kernelILj1024El18rocsparse_bfloat16S1_ffEEv20rocsparse_operation_lNS_24const_host_device_scalarIT4_EEPKT0_S8_PKT1_PKT2_PT3_21rocsparse_index_base_b.has_indirect_call, 0
	.section	.AMDGPU.csdata,"",@progbits
; Kernel info:
; codeLenInByte = 344
; TotalNumSgprs: 18
; NumVgprs: 8
; ScratchSize: 0
; MemoryBound: 0
; FloatMode: 240
; IeeeMode: 1
; LDSByteSize: 0 bytes/workgroup (compile time only)
; SGPRBlocks: 0
; VGPRBlocks: 0
; NumSGPRsForWavesPerEU: 18
; NumVGPRsForWavesPerEU: 8
; NamedBarCnt: 0
; Occupancy: 16
; WaveLimiterHint : 1
; COMPUTE_PGM_RSRC2:SCRATCH_EN: 0
; COMPUTE_PGM_RSRC2:USER_SGPR: 2
; COMPUTE_PGM_RSRC2:TRAP_HANDLER: 0
; COMPUTE_PGM_RSRC2:TGID_X_EN: 1
; COMPUTE_PGM_RSRC2:TGID_Y_EN: 0
; COMPUTE_PGM_RSRC2:TGID_Z_EN: 0
; COMPUTE_PGM_RSRC2:TIDIG_COMP_CNT: 0
	.section	.text._ZN9rocsparseL19coomvn_atomic_loopsILj256ELj1El18rocsparse_bfloat16S1_ffEEvlNS_24const_host_device_scalarIT5_EEPKT1_S7_PKT2_PKT3_PT4_21rocsparse_index_base_b,"axG",@progbits,_ZN9rocsparseL19coomvn_atomic_loopsILj256ELj1El18rocsparse_bfloat16S1_ffEEvlNS_24const_host_device_scalarIT5_EEPKT1_S7_PKT2_PKT3_PT4_21rocsparse_index_base_b,comdat
	.globl	_ZN9rocsparseL19coomvn_atomic_loopsILj256ELj1El18rocsparse_bfloat16S1_ffEEvlNS_24const_host_device_scalarIT5_EEPKT1_S7_PKT2_PKT3_PT4_21rocsparse_index_base_b ; -- Begin function _ZN9rocsparseL19coomvn_atomic_loopsILj256ELj1El18rocsparse_bfloat16S1_ffEEvlNS_24const_host_device_scalarIT5_EEPKT1_S7_PKT2_PKT3_PT4_21rocsparse_index_base_b
	.p2align	8
	.type	_ZN9rocsparseL19coomvn_atomic_loopsILj256ELj1El18rocsparse_bfloat16S1_ffEEvlNS_24const_host_device_scalarIT5_EEPKT1_S7_PKT2_PKT3_PT4_21rocsparse_index_base_b,@function
_ZN9rocsparseL19coomvn_atomic_loopsILj256ELj1El18rocsparse_bfloat16S1_ffEEvlNS_24const_host_device_scalarIT5_EEPKT1_S7_PKT2_PKT3_PT4_21rocsparse_index_base_b: ; @_ZN9rocsparseL19coomvn_atomic_loopsILj256ELj1El18rocsparse_bfloat16S1_ffEEvlNS_24const_host_device_scalarIT5_EEPKT1_S7_PKT2_PKT3_PT4_21rocsparse_index_base_b
; %bb.0:
	s_clause 0x1
	s_load_b64 s[2:3], s[0:1], 0x38
	s_load_b128 s[4:7], s[0:1], 0x0
	s_wait_kmcnt 0x0
	s_bitcmp1_b32 s3, 0
	s_cselect_b32 s3, -1, 0
	s_delay_alu instid0(SALU_CYCLE_1)
	s_and_b32 vcc_lo, exec_lo, s3
	s_cbranch_vccnz .LBB74_2
; %bb.1:
	s_load_b32 s6, s[6:7], 0x0
.LBB74_2:
	s_wait_kmcnt 0x0
	s_cmp_eq_f32 s6, 0
	s_cbranch_scc1 .LBB74_42
; %bb.3:
	s_bfe_u32 s3, ttmp6, 0x4000c
	s_and_b32 s7, ttmp6, 15
	s_add_co_i32 s3, s3, 1
	s_getreg_b32 s8, hwreg(HW_REG_IB_STS2, 6, 4)
	s_mul_i32 s3, ttmp9, s3
	v_mov_b32_e32 v3, 0
	s_add_co_i32 s7, s7, s3
	s_cmp_eq_u32 s8, 0
	v_mov_b64_e32 v[4:5], -1
	s_cselect_b32 s3, ttmp9, s7
	s_delay_alu instid0(SALU_CYCLE_1) | instskip(NEXT) | instid1(VALU_DEP_1)
	v_lshl_or_b32 v2, s3, 8, v0
	v_cmp_gt_i64_e32 vcc_lo, s[4:5], v[2:3]
	s_and_saveexec_b32 s4, vcc_lo
	s_cbranch_execz .LBB74_5
; %bb.4:
	s_load_b256 s[8:15], s[0:1], 0x10
	v_lshlrev_b64_e32 v[4:5], 3, v[2:3]
	s_mov_b32 s3, 0
	s_wait_kmcnt 0x0
	s_delay_alu instid0(VALU_DEP_1)
	v_add_nc_u64_e32 v[6:7], s[10:11], v[4:5]
	v_lshl_add_u64 v[2:3], v[2:3], 1, s[12:13]
	v_add_nc_u64_e32 v[4:5], s[8:9], v[4:5]
	global_load_b64 v[6:7], v[6:7], off th:TH_LOAD_NT
	s_wait_loadcnt 0x0
	v_sub_nc_u64_e64 v[6:7], v[6:7], s[2:3]
	s_delay_alu instid0(VALU_DEP_1)
	v_lshl_add_u64 v[6:7], v[6:7], 1, s[14:15]
	global_load_u16 v1, v[2:3], off
	global_load_u16 v10, v[6:7], off
	global_load_b64 v[8:9], v[4:5], off th:TH_LOAD_NT
	s_wait_loadcnt 0x1
	s_wait_xcnt 0x2
	v_dual_lshlrev_b32 v1, 16, v1 :: v_dual_lshlrev_b32 v2, 16, v10
	s_wait_loadcnt 0x0
	v_sub_nc_u64_e64 v[4:5], v[8:9], s[2:3]
	s_delay_alu instid0(VALU_DEP_2)
	v_mul_f32_e32 v3, v2, v1
.LBB74_5:
	s_or_b32 exec_lo, exec_lo, s4
	v_dual_lshlrev_b32 v6, 2, v0 :: v_dual_lshlrev_b32 v1, 3, v0
	s_mov_b32 s2, exec_lo
	ds_store_b64 v1, v[4:5]
	ds_store_b32 v6, v3 offset:2048
	v_or_b32_e32 v2, 0x800, v6
	s_wait_dscnt 0x0
	s_barrier_signal -1
	s_barrier_wait -1
	v_cmpx_ne_u32_e32 0, v0
	s_cbranch_execz .LBB74_9
; %bb.6:
	v_add_nc_u32_e32 v6, -8, v1
	s_mov_b32 s3, exec_lo
	ds_load_b64 v[6:7], v6
	s_wait_dscnt 0x0
	v_cmpx_eq_u64_e64 v[4:5], v[6:7]
	s_cbranch_execz .LBB74_8
; %bb.7:
	v_add_nc_u32_e32 v6, -4, v2
	ds_load_b32 v6, v6
	s_wait_dscnt 0x0
	v_add_f32_e32 v3, v3, v6
.LBB74_8:
	s_or_b32 exec_lo, exec_lo, s3
.LBB74_9:
	s_delay_alu instid0(SALU_CYCLE_1) | instskip(NEXT) | instid1(SALU_CYCLE_1)
	s_or_b32 exec_lo, exec_lo, s2
	s_mov_b32 s2, exec_lo
	s_barrier_signal -1
	s_barrier_wait -1
	ds_store_b32 v2, v3
	s_wait_dscnt 0x0
	s_barrier_signal -1
	s_barrier_wait -1
	v_cmpx_lt_u32_e32 1, v0
	s_cbranch_execz .LBB74_13
; %bb.10:
	v_add_nc_u32_e32 v6, -16, v1
	s_mov_b32 s3, exec_lo
	ds_load_b64 v[6:7], v6
	s_wait_dscnt 0x0
	v_cmpx_eq_u64_e64 v[4:5], v[6:7]
	s_cbranch_execz .LBB74_12
; %bb.11:
	v_add_nc_u32_e32 v6, -8, v2
	ds_load_b32 v6, v6
	s_wait_dscnt 0x0
	v_add_f32_e32 v3, v3, v6
.LBB74_12:
	s_or_b32 exec_lo, exec_lo, s3
.LBB74_13:
	s_delay_alu instid0(SALU_CYCLE_1) | instskip(NEXT) | instid1(SALU_CYCLE_1)
	s_or_b32 exec_lo, exec_lo, s2
	s_mov_b32 s2, exec_lo
	s_barrier_signal -1
	s_barrier_wait -1
	ds_store_b32 v2, v3
	s_wait_dscnt 0x0
	s_barrier_signal -1
	s_barrier_wait -1
	v_cmpx_lt_u32_e32 3, v0
	s_cbranch_execz .LBB74_17
; %bb.14:
	v_subrev_nc_u32_e32 v6, 32, v1
	s_mov_b32 s3, exec_lo
	ds_load_b64 v[6:7], v6
	s_wait_dscnt 0x0
	v_cmpx_eq_u64_e64 v[4:5], v[6:7]
	s_cbranch_execz .LBB74_16
; %bb.15:
	v_add_nc_u32_e32 v6, -16, v2
	ds_load_b32 v6, v6
	s_wait_dscnt 0x0
	v_add_f32_e32 v3, v3, v6
.LBB74_16:
	s_or_b32 exec_lo, exec_lo, s3
.LBB74_17:
	s_delay_alu instid0(SALU_CYCLE_1) | instskip(NEXT) | instid1(SALU_CYCLE_1)
	s_or_b32 exec_lo, exec_lo, s2
	s_mov_b32 s2, exec_lo
	s_barrier_signal -1
	s_barrier_wait -1
	ds_store_b32 v2, v3
	s_wait_dscnt 0x0
	s_barrier_signal -1
	s_barrier_wait -1
	v_cmpx_lt_u32_e32 7, v0
	s_cbranch_execz .LBB74_21
; %bb.18:
	v_subrev_nc_u32_e32 v6, 64, v1
	s_mov_b32 s3, exec_lo
	ds_load_b64 v[6:7], v6
	s_wait_dscnt 0x0
	v_cmpx_eq_u64_e64 v[4:5], v[6:7]
	s_cbranch_execz .LBB74_20
; %bb.19:
	v_subrev_nc_u32_e32 v6, 32, v2
	ds_load_b32 v6, v6
	s_wait_dscnt 0x0
	v_add_f32_e32 v3, v3, v6
.LBB74_20:
	s_or_b32 exec_lo, exec_lo, s3
.LBB74_21:
	s_delay_alu instid0(SALU_CYCLE_1) | instskip(NEXT) | instid1(SALU_CYCLE_1)
	s_or_b32 exec_lo, exec_lo, s2
	s_mov_b32 s2, exec_lo
	s_barrier_signal -1
	s_barrier_wait -1
	ds_store_b32 v2, v3
	s_wait_dscnt 0x0
	s_barrier_signal -1
	s_barrier_wait -1
	v_cmpx_lt_u32_e32 15, v0
	s_cbranch_execz .LBB74_25
; %bb.22:
	v_add_nc_u32_e32 v6, 0xffffff80, v1
	s_mov_b32 s3, exec_lo
	ds_load_b64 v[6:7], v6
	s_wait_dscnt 0x0
	v_cmpx_eq_u64_e64 v[4:5], v[6:7]
	s_cbranch_execz .LBB74_24
; %bb.23:
	v_subrev_nc_u32_e32 v6, 64, v2
	ds_load_b32 v6, v6
	s_wait_dscnt 0x0
	v_add_f32_e32 v3, v3, v6
.LBB74_24:
	s_or_b32 exec_lo, exec_lo, s3
.LBB74_25:
	s_delay_alu instid0(SALU_CYCLE_1) | instskip(NEXT) | instid1(SALU_CYCLE_1)
	s_or_b32 exec_lo, exec_lo, s2
	s_mov_b32 s2, exec_lo
	s_barrier_signal -1
	s_barrier_wait -1
	ds_store_b32 v2, v3
	s_wait_dscnt 0x0
	s_barrier_signal -1
	s_barrier_wait -1
	v_cmpx_lt_u32_e32 31, v0
	s_cbranch_execz .LBB74_29
; %bb.26:
	v_add_nc_u32_e32 v6, 0xffffff00, v1
	s_mov_b32 s3, exec_lo
	ds_load_b64 v[6:7], v6
	s_wait_dscnt 0x0
	v_cmpx_eq_u64_e64 v[4:5], v[6:7]
	s_cbranch_execz .LBB74_28
; %bb.27:
	v_add_nc_u32_e32 v6, 0xffffff80, v2
	ds_load_b32 v6, v6
	s_wait_dscnt 0x0
	v_add_f32_e32 v3, v3, v6
.LBB74_28:
	s_or_b32 exec_lo, exec_lo, s3
.LBB74_29:
	s_delay_alu instid0(SALU_CYCLE_1) | instskip(NEXT) | instid1(SALU_CYCLE_1)
	s_or_b32 exec_lo, exec_lo, s2
	s_mov_b32 s2, exec_lo
	s_barrier_signal -1
	s_barrier_wait -1
	ds_store_b32 v2, v3
	s_wait_dscnt 0x0
	s_barrier_signal -1
	s_barrier_wait -1
	v_cmpx_lt_u32_e32 63, v0
	s_cbranch_execz .LBB74_33
; %bb.30:
	v_add_nc_u32_e32 v6, 0xfffffe00, v1
	s_mov_b32 s3, exec_lo
	ds_load_b64 v[6:7], v6
	s_wait_dscnt 0x0
	v_cmpx_eq_u64_e64 v[4:5], v[6:7]
	s_cbranch_execz .LBB74_32
; %bb.31:
	v_add_nc_u32_e32 v6, 0xffffff00, v2
	ds_load_b32 v6, v6
	s_wait_dscnt 0x0
	v_add_f32_e32 v3, v3, v6
.LBB74_32:
	s_or_b32 exec_lo, exec_lo, s3
.LBB74_33:
	;; [unrolled: 26-line block ×3, first 2 shown]
	s_delay_alu instid0(SALU_CYCLE_1)
	s_or_b32 exec_lo, exec_lo, s2
	s_load_b64 s[2:3], s[0:1], 0x30
	s_wait_xcnt 0x0
	s_mov_b32 s1, exec_lo
	s_barrier_signal -1
	s_barrier_wait -1
	ds_store_b32 v2, v3
	s_wait_dscnt 0x0
	s_barrier_signal -1
	s_barrier_wait -1
	v_cmpx_gt_u32_e32 0xff, v0
	s_cbranch_execz .LBB74_40
; %bb.38:
	ds_load_b64 v[6:7], v1 offset:8
	v_cmp_lt_i64_e64 s0, -1, v[4:5]
	s_wait_dscnt 0x0
	v_cmp_ne_u64_e32 vcc_lo, v[4:5], v[6:7]
	s_and_b32 s0, s0, vcc_lo
	s_delay_alu instid0(SALU_CYCLE_1)
	s_and_b32 exec_lo, exec_lo, s0
	s_cbranch_execz .LBB74_40
; %bb.39:
	s_wait_kmcnt 0x0
	v_lshl_add_u64 v[6:7], v[4:5], 2, s[2:3]
	v_mul_f32_e32 v1, s6, v3
	global_atomic_add_f32 v[6:7], v1, off scope:SCOPE_DEV
.LBB74_40:
	s_wait_xcnt 0x0
	s_or_b32 exec_lo, exec_lo, s1
	v_cmp_lt_i64_e32 vcc_lo, -1, v[4:5]
	v_cmp_eq_u32_e64 s0, 0xff, v0
	s_and_b32 s0, s0, vcc_lo
	s_delay_alu instid0(SALU_CYCLE_1)
	s_and_saveexec_b32 s1, s0
	s_cbranch_execz .LBB74_42
; %bb.41:
	s_wait_kmcnt 0x0
	v_lshl_add_u64 v[0:1], v[4:5], 2, s[2:3]
	v_mul_f32_e32 v2, s6, v3
	global_atomic_add_f32 v[0:1], v2, off scope:SCOPE_DEV
.LBB74_42:
	s_endpgm
	.section	.rodata,"a",@progbits
	.p2align	6, 0x0
	.amdhsa_kernel _ZN9rocsparseL19coomvn_atomic_loopsILj256ELj1El18rocsparse_bfloat16S1_ffEEvlNS_24const_host_device_scalarIT5_EEPKT1_S7_PKT2_PKT3_PT4_21rocsparse_index_base_b
		.amdhsa_group_segment_fixed_size 3072
		.amdhsa_private_segment_fixed_size 0
		.amdhsa_kernarg_size 64
		.amdhsa_user_sgpr_count 2
		.amdhsa_user_sgpr_dispatch_ptr 0
		.amdhsa_user_sgpr_queue_ptr 0
		.amdhsa_user_sgpr_kernarg_segment_ptr 1
		.amdhsa_user_sgpr_dispatch_id 0
		.amdhsa_user_sgpr_kernarg_preload_length 0
		.amdhsa_user_sgpr_kernarg_preload_offset 0
		.amdhsa_user_sgpr_private_segment_size 0
		.amdhsa_wavefront_size32 1
		.amdhsa_uses_dynamic_stack 0
		.amdhsa_enable_private_segment 0
		.amdhsa_system_sgpr_workgroup_id_x 1
		.amdhsa_system_sgpr_workgroup_id_y 0
		.amdhsa_system_sgpr_workgroup_id_z 0
		.amdhsa_system_sgpr_workgroup_info 0
		.amdhsa_system_vgpr_workitem_id 0
		.amdhsa_next_free_vgpr 11
		.amdhsa_next_free_sgpr 16
		.amdhsa_named_barrier_count 0
		.amdhsa_reserve_vcc 1
		.amdhsa_float_round_mode_32 0
		.amdhsa_float_round_mode_16_64 0
		.amdhsa_float_denorm_mode_32 3
		.amdhsa_float_denorm_mode_16_64 3
		.amdhsa_fp16_overflow 0
		.amdhsa_memory_ordered 1
		.amdhsa_forward_progress 1
		.amdhsa_inst_pref_size 11
		.amdhsa_round_robin_scheduling 0
		.amdhsa_exception_fp_ieee_invalid_op 0
		.amdhsa_exception_fp_denorm_src 0
		.amdhsa_exception_fp_ieee_div_zero 0
		.amdhsa_exception_fp_ieee_overflow 0
		.amdhsa_exception_fp_ieee_underflow 0
		.amdhsa_exception_fp_ieee_inexact 0
		.amdhsa_exception_int_div_zero 0
	.end_amdhsa_kernel
	.section	.text._ZN9rocsparseL19coomvn_atomic_loopsILj256ELj1El18rocsparse_bfloat16S1_ffEEvlNS_24const_host_device_scalarIT5_EEPKT1_S7_PKT2_PKT3_PT4_21rocsparse_index_base_b,"axG",@progbits,_ZN9rocsparseL19coomvn_atomic_loopsILj256ELj1El18rocsparse_bfloat16S1_ffEEvlNS_24const_host_device_scalarIT5_EEPKT1_S7_PKT2_PKT3_PT4_21rocsparse_index_base_b,comdat
.Lfunc_end74:
	.size	_ZN9rocsparseL19coomvn_atomic_loopsILj256ELj1El18rocsparse_bfloat16S1_ffEEvlNS_24const_host_device_scalarIT5_EEPKT1_S7_PKT2_PKT3_PT4_21rocsparse_index_base_b, .Lfunc_end74-_ZN9rocsparseL19coomvn_atomic_loopsILj256ELj1El18rocsparse_bfloat16S1_ffEEvlNS_24const_host_device_scalarIT5_EEPKT1_S7_PKT2_PKT3_PT4_21rocsparse_index_base_b
                                        ; -- End function
	.set _ZN9rocsparseL19coomvn_atomic_loopsILj256ELj1El18rocsparse_bfloat16S1_ffEEvlNS_24const_host_device_scalarIT5_EEPKT1_S7_PKT2_PKT3_PT4_21rocsparse_index_base_b.num_vgpr, 11
	.set _ZN9rocsparseL19coomvn_atomic_loopsILj256ELj1El18rocsparse_bfloat16S1_ffEEvlNS_24const_host_device_scalarIT5_EEPKT1_S7_PKT2_PKT3_PT4_21rocsparse_index_base_b.num_agpr, 0
	.set _ZN9rocsparseL19coomvn_atomic_loopsILj256ELj1El18rocsparse_bfloat16S1_ffEEvlNS_24const_host_device_scalarIT5_EEPKT1_S7_PKT2_PKT3_PT4_21rocsparse_index_base_b.numbered_sgpr, 16
	.set _ZN9rocsparseL19coomvn_atomic_loopsILj256ELj1El18rocsparse_bfloat16S1_ffEEvlNS_24const_host_device_scalarIT5_EEPKT1_S7_PKT2_PKT3_PT4_21rocsparse_index_base_b.num_named_barrier, 0
	.set _ZN9rocsparseL19coomvn_atomic_loopsILj256ELj1El18rocsparse_bfloat16S1_ffEEvlNS_24const_host_device_scalarIT5_EEPKT1_S7_PKT2_PKT3_PT4_21rocsparse_index_base_b.private_seg_size, 0
	.set _ZN9rocsparseL19coomvn_atomic_loopsILj256ELj1El18rocsparse_bfloat16S1_ffEEvlNS_24const_host_device_scalarIT5_EEPKT1_S7_PKT2_PKT3_PT4_21rocsparse_index_base_b.uses_vcc, 1
	.set _ZN9rocsparseL19coomvn_atomic_loopsILj256ELj1El18rocsparse_bfloat16S1_ffEEvlNS_24const_host_device_scalarIT5_EEPKT1_S7_PKT2_PKT3_PT4_21rocsparse_index_base_b.uses_flat_scratch, 0
	.set _ZN9rocsparseL19coomvn_atomic_loopsILj256ELj1El18rocsparse_bfloat16S1_ffEEvlNS_24const_host_device_scalarIT5_EEPKT1_S7_PKT2_PKT3_PT4_21rocsparse_index_base_b.has_dyn_sized_stack, 0
	.set _ZN9rocsparseL19coomvn_atomic_loopsILj256ELj1El18rocsparse_bfloat16S1_ffEEvlNS_24const_host_device_scalarIT5_EEPKT1_S7_PKT2_PKT3_PT4_21rocsparse_index_base_b.has_recursion, 0
	.set _ZN9rocsparseL19coomvn_atomic_loopsILj256ELj1El18rocsparse_bfloat16S1_ffEEvlNS_24const_host_device_scalarIT5_EEPKT1_S7_PKT2_PKT3_PT4_21rocsparse_index_base_b.has_indirect_call, 0
	.section	.AMDGPU.csdata,"",@progbits
; Kernel info:
; codeLenInByte = 1368
; TotalNumSgprs: 18
; NumVgprs: 11
; ScratchSize: 0
; MemoryBound: 0
; FloatMode: 240
; IeeeMode: 1
; LDSByteSize: 3072 bytes/workgroup (compile time only)
; SGPRBlocks: 0
; VGPRBlocks: 0
; NumSGPRsForWavesPerEU: 18
; NumVGPRsForWavesPerEU: 11
; NamedBarCnt: 0
; Occupancy: 16
; WaveLimiterHint : 1
; COMPUTE_PGM_RSRC2:SCRATCH_EN: 0
; COMPUTE_PGM_RSRC2:USER_SGPR: 2
; COMPUTE_PGM_RSRC2:TRAP_HANDLER: 0
; COMPUTE_PGM_RSRC2:TGID_X_EN: 1
; COMPUTE_PGM_RSRC2:TGID_Y_EN: 0
; COMPUTE_PGM_RSRC2:TGID_Z_EN: 0
; COMPUTE_PGM_RSRC2:TIDIG_COMP_CNT: 0
	.section	.text._ZN9rocsparseL19coomvn_atomic_loopsILj256ELj2El18rocsparse_bfloat16S1_ffEEvlNS_24const_host_device_scalarIT5_EEPKT1_S7_PKT2_PKT3_PT4_21rocsparse_index_base_b,"axG",@progbits,_ZN9rocsparseL19coomvn_atomic_loopsILj256ELj2El18rocsparse_bfloat16S1_ffEEvlNS_24const_host_device_scalarIT5_EEPKT1_S7_PKT2_PKT3_PT4_21rocsparse_index_base_b,comdat
	.globl	_ZN9rocsparseL19coomvn_atomic_loopsILj256ELj2El18rocsparse_bfloat16S1_ffEEvlNS_24const_host_device_scalarIT5_EEPKT1_S7_PKT2_PKT3_PT4_21rocsparse_index_base_b ; -- Begin function _ZN9rocsparseL19coomvn_atomic_loopsILj256ELj2El18rocsparse_bfloat16S1_ffEEvlNS_24const_host_device_scalarIT5_EEPKT1_S7_PKT2_PKT3_PT4_21rocsparse_index_base_b
	.p2align	8
	.type	_ZN9rocsparseL19coomvn_atomic_loopsILj256ELj2El18rocsparse_bfloat16S1_ffEEvlNS_24const_host_device_scalarIT5_EEPKT1_S7_PKT2_PKT3_PT4_21rocsparse_index_base_b,@function
_ZN9rocsparseL19coomvn_atomic_loopsILj256ELj2El18rocsparse_bfloat16S1_ffEEvlNS_24const_host_device_scalarIT5_EEPKT1_S7_PKT2_PKT3_PT4_21rocsparse_index_base_b: ; @_ZN9rocsparseL19coomvn_atomic_loopsILj256ELj2El18rocsparse_bfloat16S1_ffEEvlNS_24const_host_device_scalarIT5_EEPKT1_S7_PKT2_PKT3_PT4_21rocsparse_index_base_b
; %bb.0:
	s_clause 0x1
	s_load_b64 s[24:25], s[0:1], 0x38
	s_load_b128 s[20:23], s[0:1], 0x0
	s_wait_kmcnt 0x0
	s_bitcmp1_b32 s25, 0
	s_cselect_b32 s2, -1, 0
	s_delay_alu instid0(SALU_CYCLE_1)
	s_and_b32 vcc_lo, exec_lo, s2
	s_cbranch_vccnz .LBB75_2
; %bb.1:
	s_load_b32 s22, s[22:23], 0x0
.LBB75_2:
	s_wait_kmcnt 0x0
	s_cmp_eq_f32 s22, 0
	s_cbranch_scc1 .LBB75_88
; %bb.3:
	s_load_b256 s[12:19], s[0:1], 0x10
	s_bfe_u32 s2, ttmp6, 0x4000c
	s_and_b32 s3, ttmp6, 15
	s_add_co_i32 s2, s2, 1
	s_getreg_b32 s4, hwreg(HW_REG_IB_STS2, 6, 4)
	s_mul_i32 s2, ttmp9, s2
	v_mov_b32_e32 v7, 0
	s_add_co_i32 s3, s3, s2
	s_cmp_eq_u32 s4, 0
	v_mov_b64_e32 v[8:9], -1
	s_cselect_b32 s2, ttmp9, s3
	v_mov_b32_e32 v19, v7
	v_lshl_or_b32 v6, s2, 9, v0
	s_mov_b32 s2, exec_lo
	s_delay_alu instid0(VALU_DEP_1)
	v_lshlrev_b64_e32 v[4:5], 3, v[6:7]
	s_wait_kmcnt 0x0
	v_lshl_add_u64 v[2:3], v[6:7], 1, s[16:17]
	v_cmpx_gt_i64_e64 s[20:21], v[6:7]
	s_cbranch_execz .LBB75_5
; %bb.4:
	s_delay_alu instid0(VALU_DEP_3)
	v_add_nc_u64_e32 v[8:9], s[14:15], v[4:5]
	s_mov_b32 s25, 0
	v_add_nc_u64_e32 v[10:11], s[12:13], v[4:5]
	global_load_b64 v[8:9], v[8:9], off th:TH_LOAD_NT
	s_wait_loadcnt 0x0
	v_sub_nc_u64_e64 v[8:9], v[8:9], s[24:25]
	s_delay_alu instid0(VALU_DEP_1)
	v_lshl_add_u64 v[8:9], v[8:9], 1, s[18:19]
	global_load_u16 v1, v[2:3], off
	global_load_u16 v14, v[8:9], off
	global_load_b64 v[12:13], v[10:11], off th:TH_LOAD_NT
	s_wait_loadcnt 0x1
	s_wait_xcnt 0x0
	v_dual_lshlrev_b32 v1, 16, v1 :: v_dual_lshlrev_b32 v10, 16, v14
	s_wait_loadcnt 0x0
	v_sub_nc_u64_e64 v[8:9], v[12:13], s[24:25]
	s_delay_alu instid0(VALU_DEP_2)
	v_mul_f32_e32 v19, v10, v1
.LBB75_5:
	s_or_b32 exec_lo, exec_lo, s2
	v_dual_lshlrev_b32 v11, 2, v0 :: v_dual_lshlrev_b32 v1, 3, v0
	v_cmp_ne_u32_e64 s2, 0, v0
	v_cmp_eq_u32_e32 vcc_lo, 0, v0
	ds_store_b64 v1, v[8:9]
	ds_store_b32 v11, v19 offset:2048
	v_or_b32_e32 v10, 0x800, v11
	v_add_nc_u32_e32 v11, -8, v1
	s_wait_dscnt 0x0
	s_barrier_signal -1
	s_barrier_wait -1
	s_and_saveexec_b32 s4, s2
	s_cbranch_execz .LBB75_9
; %bb.6:
	ds_load_b64 v[12:13], v11
	s_mov_b32 s5, exec_lo
	s_wait_dscnt 0x0
	v_cmpx_eq_u64_e64 v[8:9], v[12:13]
	s_cbranch_execz .LBB75_8
; %bb.7:
	v_add_nc_u32_e32 v12, -4, v10
	ds_load_b32 v12, v12
	s_wait_dscnt 0x0
	v_add_f32_e32 v19, v19, v12
.LBB75_8:
	s_or_b32 exec_lo, exec_lo, s5
.LBB75_9:
	s_delay_alu instid0(SALU_CYCLE_1)
	s_or_b32 exec_lo, exec_lo, s4
	v_cmp_lt_u32_e64 s3, 1, v0
	v_add_nc_u32_e32 v12, -16, v1
	s_barrier_signal -1
	s_barrier_wait -1
	ds_store_b32 v10, v19
	s_wait_dscnt 0x0
	s_barrier_signal -1
	s_barrier_wait -1
	s_and_saveexec_b32 s5, s3
	s_cbranch_execz .LBB75_13
; %bb.10:
	ds_load_b64 v[14:15], v12
	s_mov_b32 s6, exec_lo
	s_wait_dscnt 0x0
	v_cmpx_eq_u64_e64 v[8:9], v[14:15]
	s_cbranch_execz .LBB75_12
; %bb.11:
	v_add_nc_u32_e32 v13, -8, v10
	ds_load_b32 v13, v13
	s_wait_dscnt 0x0
	v_add_f32_e32 v19, v19, v13
.LBB75_12:
	s_or_b32 exec_lo, exec_lo, s6
.LBB75_13:
	s_delay_alu instid0(SALU_CYCLE_1)
	s_or_b32 exec_lo, exec_lo, s5
	v_cmp_lt_u32_e64 s4, 3, v0
	v_subrev_nc_u32_e32 v13, 32, v1
	s_barrier_signal -1
	s_barrier_wait -1
	ds_store_b32 v10, v19
	s_wait_dscnt 0x0
	s_barrier_signal -1
	s_barrier_wait -1
	s_and_saveexec_b32 s6, s4
	s_cbranch_execz .LBB75_17
; %bb.14:
	ds_load_b64 v[14:15], v13
	s_mov_b32 s7, exec_lo
	s_wait_dscnt 0x0
	v_cmpx_eq_u64_e64 v[8:9], v[14:15]
	s_cbranch_execz .LBB75_16
; %bb.15:
	v_add_nc_u32_e32 v14, -16, v10
	ds_load_b32 v14, v14
	s_wait_dscnt 0x0
	v_add_f32_e32 v19, v19, v14
.LBB75_16:
	s_or_b32 exec_lo, exec_lo, s7
.LBB75_17:
	s_delay_alu instid0(SALU_CYCLE_1)
	s_or_b32 exec_lo, exec_lo, s6
	v_cmp_lt_u32_e64 s5, 7, v0
	v_subrev_nc_u32_e32 v14, 64, v1
	s_barrier_signal -1
	s_barrier_wait -1
	ds_store_b32 v10, v19
	s_wait_dscnt 0x0
	s_barrier_signal -1
	s_barrier_wait -1
	s_and_saveexec_b32 s7, s5
	s_cbranch_execz .LBB75_21
; %bb.18:
	ds_load_b64 v[16:17], v14
	s_mov_b32 s8, exec_lo
	s_wait_dscnt 0x0
	v_cmpx_eq_u64_e64 v[8:9], v[16:17]
	s_cbranch_execz .LBB75_20
; %bb.19:
	v_subrev_nc_u32_e32 v15, 32, v10
	ds_load_b32 v15, v15
	s_wait_dscnt 0x0
	v_add_f32_e32 v19, v19, v15
.LBB75_20:
	s_or_b32 exec_lo, exec_lo, s8
.LBB75_21:
	s_delay_alu instid0(SALU_CYCLE_1)
	s_or_b32 exec_lo, exec_lo, s7
	v_cmp_lt_u32_e64 s6, 15, v0
	v_add_nc_u32_e32 v15, 0xffffff80, v1
	s_barrier_signal -1
	s_barrier_wait -1
	ds_store_b32 v10, v19
	s_wait_dscnt 0x0
	s_barrier_signal -1
	s_barrier_wait -1
	s_and_saveexec_b32 s8, s6
	s_cbranch_execz .LBB75_25
; %bb.22:
	ds_load_b64 v[16:17], v15
	s_mov_b32 s9, exec_lo
	s_wait_dscnt 0x0
	v_cmpx_eq_u64_e64 v[8:9], v[16:17]
	s_cbranch_execz .LBB75_24
; %bb.23:
	v_subrev_nc_u32_e32 v16, 64, v10
	ds_load_b32 v16, v16
	s_wait_dscnt 0x0
	v_add_f32_e32 v19, v19, v16
.LBB75_24:
	s_or_b32 exec_lo, exec_lo, s9
.LBB75_25:
	s_delay_alu instid0(SALU_CYCLE_1)
	s_or_b32 exec_lo, exec_lo, s8
	v_cmp_lt_u32_e64 s7, 31, v0
	v_add_nc_u32_e32 v16, 0xffffff00, v1
	s_barrier_signal -1
	s_barrier_wait -1
	ds_store_b32 v10, v19
	s_wait_dscnt 0x0
	s_barrier_signal -1
	s_barrier_wait -1
	s_and_saveexec_b32 s9, s7
	s_cbranch_execz .LBB75_29
; %bb.26:
	ds_load_b64 v[20:21], v16
	s_mov_b32 s10, exec_lo
	s_wait_dscnt 0x0
	v_cmpx_eq_u64_e64 v[8:9], v[20:21]
	s_cbranch_execz .LBB75_28
; %bb.27:
	v_add_nc_u32_e32 v17, 0xffffff80, v10
	ds_load_b32 v17, v17
	s_wait_dscnt 0x0
	v_add_f32_e32 v19, v19, v17
.LBB75_28:
	s_or_b32 exec_lo, exec_lo, s10
.LBB75_29:
	s_delay_alu instid0(SALU_CYCLE_1)
	s_or_b32 exec_lo, exec_lo, s9
	v_cmp_lt_u32_e64 s8, 63, v0
	v_add_nc_u32_e32 v17, 0xfffffe00, v1
	s_barrier_signal -1
	s_barrier_wait -1
	ds_store_b32 v10, v19
	s_wait_dscnt 0x0
	s_barrier_signal -1
	s_barrier_wait -1
	s_and_saveexec_b32 s10, s8
	s_cbranch_execz .LBB75_33
; %bb.30:
	ds_load_b64 v[20:21], v17
	s_mov_b32 s11, exec_lo
	s_wait_dscnt 0x0
	v_cmpx_eq_u64_e64 v[8:9], v[20:21]
	s_cbranch_execz .LBB75_32
; %bb.31:
	v_add_nc_u32_e32 v18, 0xffffff00, v10
	ds_load_b32 v18, v18
	s_wait_dscnt 0x0
	v_add_f32_e32 v19, v19, v18
.LBB75_32:
	s_or_b32 exec_lo, exec_lo, s11
.LBB75_33:
	;; [unrolled: 26-line block ×3, first 2 shown]
	s_delay_alu instid0(SALU_CYCLE_1)
	s_or_b32 exec_lo, exec_lo, s11
	s_load_b64 s[16:17], s[0:1], 0x30
	s_wait_xcnt 0x0
	v_cmp_gt_u32_e64 s0, 0xff, v0
	s_barrier_signal -1
	s_barrier_wait -1
	ds_store_b32 v10, v19
	s_wait_dscnt 0x0
	s_barrier_signal -1
	s_barrier_wait -1
	s_and_saveexec_b32 s11, s0
	s_cbranch_execz .LBB75_40
; %bb.38:
	ds_load_b64 v[20:21], v1 offset:8
	v_cmp_lt_i64_e64 s10, -1, v[8:9]
	s_wait_dscnt 0x0
	v_cmp_ne_u64_e64 s1, v[8:9], v[20:21]
	s_and_b32 s1, s10, s1
	s_delay_alu instid0(SALU_CYCLE_1)
	s_and_b32 exec_lo, exec_lo, s1
	s_cbranch_execz .LBB75_40
; %bb.39:
	s_wait_kmcnt 0x0
	v_lshl_add_u64 v[8:9], v[8:9], 2, s[16:17]
	v_mul_f32_e32 v19, s22, v19
	global_atomic_add_f32 v[8:9], v19, off scope:SCOPE_DEV
.LBB75_40:
	s_wait_xcnt 0x0
	s_or_b32 exec_lo, exec_lo, s11
	v_add_nc_u64_e32 v[6:7], 0x100, v[6:7]
	v_mov_b32_e32 v8, 0
	s_delay_alu instid0(VALU_DEP_2)
	v_cmp_gt_i64_e64 s1, s[20:21], v[6:7]
	v_mov_b64_e32 v[6:7], -1
	s_and_saveexec_b32 s10, s1
	s_cbranch_execz .LBB75_42
; %bb.41:
	v_add_nc_u64_e32 v[6:7], s[14:15], v[4:5]
	s_mov_b32 s25, 0
	v_add_nc_u64_e32 v[4:5], s[12:13], v[4:5]
	global_load_b64 v[6:7], v[6:7], off offset:2048 th:TH_LOAD_NT
	s_wait_loadcnt 0x0
	v_sub_nc_u64_e64 v[6:7], v[6:7], s[24:25]
	s_delay_alu instid0(VALU_DEP_1)
	v_lshl_add_u64 v[6:7], v[6:7], 1, s[18:19]
	global_load_u16 v19, v[2:3], off offset:512
	global_load_u16 v20, v[6:7], off
	global_load_b64 v[8:9], v[4:5], off offset:2048 th:TH_LOAD_NT
	s_wait_loadcnt 0x1
	s_wait_xcnt 0x2
	v_dual_lshlrev_b32 v2, 16, v19 :: v_dual_lshlrev_b32 v3, 16, v20
	s_wait_loadcnt 0x0
	s_wait_xcnt 0x1
	v_sub_nc_u64_e64 v[6:7], v[8:9], s[24:25]
	s_delay_alu instid0(VALU_DEP_2)
	v_mul_f32_e32 v8, v3, v2
.LBB75_42:
	s_wait_xcnt 0x0
	s_or_b32 exec_lo, exec_lo, s10
	s_and_saveexec_b32 s1, vcc_lo
	s_cbranch_execz .LBB75_51
; %bb.43:
	v_mov_b32_e32 v2, 0
	s_mov_b32 s10, exec_lo
	ds_load_b64 v[2:3], v2 offset:2040
	s_wait_dscnt 0x0
	v_cmpx_ne_u64_e64 v[6:7], v[2:3]
	s_xor_b32 s10, exec_lo, s10
	s_cbranch_execz .LBB75_48
; %bb.44:
	v_cmp_gt_i64_e32 vcc_lo, 0, v[2:3]
	s_cbranch_vccnz .LBB75_48
; %bb.45:
	s_mov_b32 s12, exec_lo
	s_mov_b32 s11, exec_lo
	v_mbcnt_lo_u32_b32 v4, s12, 0
	s_delay_alu instid0(VALU_DEP_1)
	v_cmpx_eq_u32_e32 0, v4
	s_cbranch_execz .LBB75_47
; %bb.46:
	v_mov_b32_e32 v4, 0
	v_lshlrev_b64_e32 v[2:3], 2, v[2:3]
	s_bcnt1_i32_b32 s12, s12
	s_delay_alu instid0(SALU_CYCLE_1)
	v_cvt_f32_ubyte0_e32 v5, s12
	ds_load_b32 v4, v4 offset:3068
	s_wait_kmcnt 0x0
	v_add_nc_u64_e32 v[2:3], s[16:17], v[2:3]
	s_wait_dscnt 0x0
	v_mul_f32_e32 v4, s22, v4
	s_delay_alu instid0(VALU_DEP_1)
	v_mul_f32_e32 v4, v4, v5
	global_atomic_add_f32 v[2:3], v4, off scope:SCOPE_DEV
.LBB75_47:
	s_wait_xcnt 0x0
	s_or_b32 exec_lo, exec_lo, s11
.LBB75_48:
	s_and_not1_saveexec_b32 s10, s10
	s_cbranch_execz .LBB75_50
; %bb.49:
	v_mov_b32_e32 v2, 0
	ds_load_b32 v2, v2 offset:3068
	s_wait_dscnt 0x0
	v_add_f32_e32 v8, v8, v2
.LBB75_50:
	s_or_b32 exec_lo, exec_lo, s10
.LBB75_51:
	s_delay_alu instid0(SALU_CYCLE_1)
	s_or_b32 exec_lo, exec_lo, s1
	s_wait_storecnt 0x0
	s_barrier_signal -1
	s_barrier_wait -1
	ds_store_b64 v1, v[6:7]
	ds_store_b32 v10, v8
	s_wait_dscnt 0x0
	s_barrier_signal -1
	s_barrier_wait -1
	s_and_saveexec_b32 s1, s2
	s_cbranch_execz .LBB75_55
; %bb.52:
	ds_load_b64 v[2:3], v11
	s_mov_b32 s2, exec_lo
	s_wait_dscnt 0x0
	v_cmpx_eq_u64_e64 v[6:7], v[2:3]
	s_cbranch_execz .LBB75_54
; %bb.53:
	v_add_nc_u32_e32 v2, -4, v10
	ds_load_b32 v2, v2
	s_wait_dscnt 0x0
	v_add_f32_e32 v8, v8, v2
.LBB75_54:
	s_or_b32 exec_lo, exec_lo, s2
.LBB75_55:
	s_delay_alu instid0(SALU_CYCLE_1)
	s_or_b32 exec_lo, exec_lo, s1
	s_barrier_signal -1
	s_barrier_wait -1
	ds_store_b32 v10, v8
	s_wait_dscnt 0x0
	s_barrier_signal -1
	s_barrier_wait -1
	s_and_saveexec_b32 s1, s3
	s_cbranch_execz .LBB75_59
; %bb.56:
	ds_load_b64 v[2:3], v12
	s_mov_b32 s2, exec_lo
	s_wait_dscnt 0x0
	v_cmpx_eq_u64_e64 v[6:7], v[2:3]
	s_cbranch_execz .LBB75_58
; %bb.57:
	v_add_nc_u32_e32 v2, -8, v10
	ds_load_b32 v2, v2
	s_wait_dscnt 0x0
	v_add_f32_e32 v8, v8, v2
.LBB75_58:
	s_or_b32 exec_lo, exec_lo, s2
.LBB75_59:
	s_delay_alu instid0(SALU_CYCLE_1)
	s_or_b32 exec_lo, exec_lo, s1
	s_barrier_signal -1
	s_barrier_wait -1
	ds_store_b32 v10, v8
	s_wait_dscnt 0x0
	s_barrier_signal -1
	s_barrier_wait -1
	s_and_saveexec_b32 s1, s4
	s_cbranch_execz .LBB75_63
; %bb.60:
	ds_load_b64 v[2:3], v13
	s_mov_b32 s2, exec_lo
	s_wait_dscnt 0x0
	v_cmpx_eq_u64_e64 v[6:7], v[2:3]
	s_cbranch_execz .LBB75_62
; %bb.61:
	v_add_nc_u32_e32 v2, -16, v10
	ds_load_b32 v2, v2
	s_wait_dscnt 0x0
	v_add_f32_e32 v8, v8, v2
.LBB75_62:
	s_or_b32 exec_lo, exec_lo, s2
.LBB75_63:
	s_delay_alu instid0(SALU_CYCLE_1)
	s_or_b32 exec_lo, exec_lo, s1
	s_barrier_signal -1
	s_barrier_wait -1
	ds_store_b32 v10, v8
	s_wait_dscnt 0x0
	s_barrier_signal -1
	s_barrier_wait -1
	s_and_saveexec_b32 s1, s5
	s_cbranch_execz .LBB75_67
; %bb.64:
	ds_load_b64 v[2:3], v14
	s_mov_b32 s2, exec_lo
	s_wait_dscnt 0x0
	v_cmpx_eq_u64_e64 v[6:7], v[2:3]
	s_cbranch_execz .LBB75_66
; %bb.65:
	v_subrev_nc_u32_e32 v2, 32, v10
	ds_load_b32 v2, v2
	s_wait_dscnt 0x0
	v_add_f32_e32 v8, v8, v2
.LBB75_66:
	s_or_b32 exec_lo, exec_lo, s2
.LBB75_67:
	s_delay_alu instid0(SALU_CYCLE_1)
	s_or_b32 exec_lo, exec_lo, s1
	s_barrier_signal -1
	s_barrier_wait -1
	ds_store_b32 v10, v8
	s_wait_dscnt 0x0
	s_barrier_signal -1
	s_barrier_wait -1
	s_and_saveexec_b32 s1, s6
	s_cbranch_execz .LBB75_71
; %bb.68:
	ds_load_b64 v[2:3], v15
	s_mov_b32 s2, exec_lo
	s_wait_dscnt 0x0
	v_cmpx_eq_u64_e64 v[6:7], v[2:3]
	s_cbranch_execz .LBB75_70
; %bb.69:
	v_subrev_nc_u32_e32 v2, 64, v10
	ds_load_b32 v2, v2
	s_wait_dscnt 0x0
	v_add_f32_e32 v8, v8, v2
.LBB75_70:
	s_or_b32 exec_lo, exec_lo, s2
.LBB75_71:
	s_delay_alu instid0(SALU_CYCLE_1)
	s_or_b32 exec_lo, exec_lo, s1
	s_barrier_signal -1
	s_barrier_wait -1
	ds_store_b32 v10, v8
	s_wait_dscnt 0x0
	s_barrier_signal -1
	s_barrier_wait -1
	s_and_saveexec_b32 s1, s7
	s_cbranch_execz .LBB75_75
; %bb.72:
	ds_load_b64 v[2:3], v16
	s_mov_b32 s2, exec_lo
	s_wait_dscnt 0x0
	v_cmpx_eq_u64_e64 v[6:7], v[2:3]
	s_cbranch_execz .LBB75_74
; %bb.73:
	v_add_nc_u32_e32 v2, 0xffffff80, v10
	ds_load_b32 v2, v2
	s_wait_dscnt 0x0
	v_add_f32_e32 v8, v8, v2
.LBB75_74:
	s_or_b32 exec_lo, exec_lo, s2
.LBB75_75:
	s_delay_alu instid0(SALU_CYCLE_1)
	s_or_b32 exec_lo, exec_lo, s1
	s_barrier_signal -1
	s_barrier_wait -1
	ds_store_b32 v10, v8
	s_wait_dscnt 0x0
	s_barrier_signal -1
	s_barrier_wait -1
	s_and_saveexec_b32 s1, s8
	s_cbranch_execz .LBB75_79
; %bb.76:
	ds_load_b64 v[2:3], v17
	s_mov_b32 s2, exec_lo
	s_wait_dscnt 0x0
	v_cmpx_eq_u64_e64 v[6:7], v[2:3]
	s_cbranch_execz .LBB75_78
; %bb.77:
	v_add_nc_u32_e32 v2, 0xffffff00, v10
	ds_load_b32 v2, v2
	s_wait_dscnt 0x0
	v_add_f32_e32 v8, v8, v2
.LBB75_78:
	s_or_b32 exec_lo, exec_lo, s2
.LBB75_79:
	;; [unrolled: 24-line block ×3, first 2 shown]
	s_delay_alu instid0(SALU_CYCLE_1)
	s_or_b32 exec_lo, exec_lo, s1
	s_barrier_signal -1
	s_barrier_wait -1
	ds_store_b32 v10, v8
	s_wait_dscnt 0x0
	s_barrier_signal -1
	s_barrier_wait -1
	s_and_saveexec_b32 s1, s0
	s_cbranch_execz .LBB75_86
; %bb.84:
	ds_load_b64 v[2:3], v1 offset:8
	v_cmp_lt_i64_e64 s0, -1, v[6:7]
	s_wait_dscnt 0x0
	v_cmp_ne_u64_e32 vcc_lo, v[6:7], v[2:3]
	s_and_b32 s0, s0, vcc_lo
	s_delay_alu instid0(SALU_CYCLE_1)
	s_and_b32 exec_lo, exec_lo, s0
	s_cbranch_execz .LBB75_86
; %bb.85:
	s_wait_kmcnt 0x0
	v_lshl_add_u64 v[2:3], v[6:7], 2, s[16:17]
	v_mul_f32_e32 v1, s22, v8
	global_atomic_add_f32 v[2:3], v1, off scope:SCOPE_DEV
.LBB75_86:
	s_wait_xcnt 0x0
	s_or_b32 exec_lo, exec_lo, s1
	v_cmp_lt_i64_e32 vcc_lo, -1, v[6:7]
	v_cmp_eq_u32_e64 s0, 0xff, v0
	s_and_b32 s0, s0, vcc_lo
	s_delay_alu instid0(SALU_CYCLE_1)
	s_and_saveexec_b32 s1, s0
	s_cbranch_execz .LBB75_88
; %bb.87:
	s_wait_kmcnt 0x0
	v_lshl_add_u64 v[0:1], v[6:7], 2, s[16:17]
	v_mul_f32_e32 v2, s22, v8
	global_atomic_add_f32 v[0:1], v2, off scope:SCOPE_DEV
.LBB75_88:
	s_endpgm
	.section	.rodata,"a",@progbits
	.p2align	6, 0x0
	.amdhsa_kernel _ZN9rocsparseL19coomvn_atomic_loopsILj256ELj2El18rocsparse_bfloat16S1_ffEEvlNS_24const_host_device_scalarIT5_EEPKT1_S7_PKT2_PKT3_PT4_21rocsparse_index_base_b
		.amdhsa_group_segment_fixed_size 3072
		.amdhsa_private_segment_fixed_size 0
		.amdhsa_kernarg_size 64
		.amdhsa_user_sgpr_count 2
		.amdhsa_user_sgpr_dispatch_ptr 0
		.amdhsa_user_sgpr_queue_ptr 0
		.amdhsa_user_sgpr_kernarg_segment_ptr 1
		.amdhsa_user_sgpr_dispatch_id 0
		.amdhsa_user_sgpr_kernarg_preload_length 0
		.amdhsa_user_sgpr_kernarg_preload_offset 0
		.amdhsa_user_sgpr_private_segment_size 0
		.amdhsa_wavefront_size32 1
		.amdhsa_uses_dynamic_stack 0
		.amdhsa_enable_private_segment 0
		.amdhsa_system_sgpr_workgroup_id_x 1
		.amdhsa_system_sgpr_workgroup_id_y 0
		.amdhsa_system_sgpr_workgroup_id_z 0
		.amdhsa_system_sgpr_workgroup_info 0
		.amdhsa_system_vgpr_workitem_id 0
		.amdhsa_next_free_vgpr 22
		.amdhsa_next_free_sgpr 26
		.amdhsa_named_barrier_count 0
		.amdhsa_reserve_vcc 1
		.amdhsa_float_round_mode_32 0
		.amdhsa_float_round_mode_16_64 0
		.amdhsa_float_denorm_mode_32 3
		.amdhsa_float_denorm_mode_16_64 3
		.amdhsa_fp16_overflow 0
		.amdhsa_memory_ordered 1
		.amdhsa_forward_progress 1
		.amdhsa_inst_pref_size 21
		.amdhsa_round_robin_scheduling 0
		.amdhsa_exception_fp_ieee_invalid_op 0
		.amdhsa_exception_fp_denorm_src 0
		.amdhsa_exception_fp_ieee_div_zero 0
		.amdhsa_exception_fp_ieee_overflow 0
		.amdhsa_exception_fp_ieee_underflow 0
		.amdhsa_exception_fp_ieee_inexact 0
		.amdhsa_exception_int_div_zero 0
	.end_amdhsa_kernel
	.section	.text._ZN9rocsparseL19coomvn_atomic_loopsILj256ELj2El18rocsparse_bfloat16S1_ffEEvlNS_24const_host_device_scalarIT5_EEPKT1_S7_PKT2_PKT3_PT4_21rocsparse_index_base_b,"axG",@progbits,_ZN9rocsparseL19coomvn_atomic_loopsILj256ELj2El18rocsparse_bfloat16S1_ffEEvlNS_24const_host_device_scalarIT5_EEPKT1_S7_PKT2_PKT3_PT4_21rocsparse_index_base_b,comdat
.Lfunc_end75:
	.size	_ZN9rocsparseL19coomvn_atomic_loopsILj256ELj2El18rocsparse_bfloat16S1_ffEEvlNS_24const_host_device_scalarIT5_EEPKT1_S7_PKT2_PKT3_PT4_21rocsparse_index_base_b, .Lfunc_end75-_ZN9rocsparseL19coomvn_atomic_loopsILj256ELj2El18rocsparse_bfloat16S1_ffEEvlNS_24const_host_device_scalarIT5_EEPKT1_S7_PKT2_PKT3_PT4_21rocsparse_index_base_b
                                        ; -- End function
	.set _ZN9rocsparseL19coomvn_atomic_loopsILj256ELj2El18rocsparse_bfloat16S1_ffEEvlNS_24const_host_device_scalarIT5_EEPKT1_S7_PKT2_PKT3_PT4_21rocsparse_index_base_b.num_vgpr, 22
	.set _ZN9rocsparseL19coomvn_atomic_loopsILj256ELj2El18rocsparse_bfloat16S1_ffEEvlNS_24const_host_device_scalarIT5_EEPKT1_S7_PKT2_PKT3_PT4_21rocsparse_index_base_b.num_agpr, 0
	.set _ZN9rocsparseL19coomvn_atomic_loopsILj256ELj2El18rocsparse_bfloat16S1_ffEEvlNS_24const_host_device_scalarIT5_EEPKT1_S7_PKT2_PKT3_PT4_21rocsparse_index_base_b.numbered_sgpr, 26
	.set _ZN9rocsparseL19coomvn_atomic_loopsILj256ELj2El18rocsparse_bfloat16S1_ffEEvlNS_24const_host_device_scalarIT5_EEPKT1_S7_PKT2_PKT3_PT4_21rocsparse_index_base_b.num_named_barrier, 0
	.set _ZN9rocsparseL19coomvn_atomic_loopsILj256ELj2El18rocsparse_bfloat16S1_ffEEvlNS_24const_host_device_scalarIT5_EEPKT1_S7_PKT2_PKT3_PT4_21rocsparse_index_base_b.private_seg_size, 0
	.set _ZN9rocsparseL19coomvn_atomic_loopsILj256ELj2El18rocsparse_bfloat16S1_ffEEvlNS_24const_host_device_scalarIT5_EEPKT1_S7_PKT2_PKT3_PT4_21rocsparse_index_base_b.uses_vcc, 1
	.set _ZN9rocsparseL19coomvn_atomic_loopsILj256ELj2El18rocsparse_bfloat16S1_ffEEvlNS_24const_host_device_scalarIT5_EEPKT1_S7_PKT2_PKT3_PT4_21rocsparse_index_base_b.uses_flat_scratch, 0
	.set _ZN9rocsparseL19coomvn_atomic_loopsILj256ELj2El18rocsparse_bfloat16S1_ffEEvlNS_24const_host_device_scalarIT5_EEPKT1_S7_PKT2_PKT3_PT4_21rocsparse_index_base_b.has_dyn_sized_stack, 0
	.set _ZN9rocsparseL19coomvn_atomic_loopsILj256ELj2El18rocsparse_bfloat16S1_ffEEvlNS_24const_host_device_scalarIT5_EEPKT1_S7_PKT2_PKT3_PT4_21rocsparse_index_base_b.has_recursion, 0
	.set _ZN9rocsparseL19coomvn_atomic_loopsILj256ELj2El18rocsparse_bfloat16S1_ffEEvlNS_24const_host_device_scalarIT5_EEPKT1_S7_PKT2_PKT3_PT4_21rocsparse_index_base_b.has_indirect_call, 0
	.section	.AMDGPU.csdata,"",@progbits
; Kernel info:
; codeLenInByte = 2688
; TotalNumSgprs: 28
; NumVgprs: 22
; ScratchSize: 0
; MemoryBound: 0
; FloatMode: 240
; IeeeMode: 1
; LDSByteSize: 3072 bytes/workgroup (compile time only)
; SGPRBlocks: 0
; VGPRBlocks: 1
; NumSGPRsForWavesPerEU: 28
; NumVGPRsForWavesPerEU: 22
; NamedBarCnt: 0
; Occupancy: 16
; WaveLimiterHint : 1
; COMPUTE_PGM_RSRC2:SCRATCH_EN: 0
; COMPUTE_PGM_RSRC2:USER_SGPR: 2
; COMPUTE_PGM_RSRC2:TRAP_HANDLER: 0
; COMPUTE_PGM_RSRC2:TGID_X_EN: 1
; COMPUTE_PGM_RSRC2:TGID_Y_EN: 0
; COMPUTE_PGM_RSRC2:TGID_Z_EN: 0
; COMPUTE_PGM_RSRC2:TIDIG_COMP_CNT: 0
	.section	.text._ZN9rocsparseL22coomvn_segmented_loopsILj256Eif21rocsparse_complex_numIfES2_S2_EEvlT0_NS_24const_host_device_scalarIT4_EEPKS3_S8_PKT1_PKT2_PT3_PS3_PS5_21rocsparse_index_base_b,"axG",@progbits,_ZN9rocsparseL22coomvn_segmented_loopsILj256Eif21rocsparse_complex_numIfES2_S2_EEvlT0_NS_24const_host_device_scalarIT4_EEPKS3_S8_PKT1_PKT2_PT3_PS3_PS5_21rocsparse_index_base_b,comdat
	.globl	_ZN9rocsparseL22coomvn_segmented_loopsILj256Eif21rocsparse_complex_numIfES2_S2_EEvlT0_NS_24const_host_device_scalarIT4_EEPKS3_S8_PKT1_PKT2_PT3_PS3_PS5_21rocsparse_index_base_b ; -- Begin function _ZN9rocsparseL22coomvn_segmented_loopsILj256Eif21rocsparse_complex_numIfES2_S2_EEvlT0_NS_24const_host_device_scalarIT4_EEPKS3_S8_PKT1_PKT2_PT3_PS3_PS5_21rocsparse_index_base_b
	.p2align	8
	.type	_ZN9rocsparseL22coomvn_segmented_loopsILj256Eif21rocsparse_complex_numIfES2_S2_EEvlT0_NS_24const_host_device_scalarIT4_EEPKS3_S8_PKT1_PKT2_PT3_PS3_PS5_21rocsparse_index_base_b,@function
_ZN9rocsparseL22coomvn_segmented_loopsILj256Eif21rocsparse_complex_numIfES2_S2_EEvlT0_NS_24const_host_device_scalarIT4_EEPKS3_S8_PKT1_PKT2_PT3_PS3_PS5_21rocsparse_index_base_b: ; @_ZN9rocsparseL22coomvn_segmented_loopsILj256Eif21rocsparse_complex_numIfES2_S2_EEvlT0_NS_24const_host_device_scalarIT4_EEPKS3_S8_PKT1_PKT2_PT3_PS3_PS5_21rocsparse_index_base_b
; %bb.0:
	s_clause 0x1
	s_load_b64 s[28:29], s[0:1], 0x50
	s_load_b64 s[2:3], s[0:1], 0x10
	v_mov_b32_e32 v7, 0
	s_add_nc_u64 s[4:5], s[0:1], 16
	s_wait_kmcnt 0x0
	s_bitcmp1_b32 s29, 0
	s_cselect_b32 s3, s5, s3
	s_cselect_b32 s2, s4, s2
	flat_load_b64 v[2:3], v7, s[2:3]
	s_wait_loadcnt_dscnt 0x0
	v_cmp_neq_f32_e32 vcc_lo, 0, v2
	v_cmp_neq_f32_e64 s2, 0, v3
	s_or_b32 s2, vcc_lo, s2
	s_delay_alu instid0(SALU_CYCLE_1)
	s_and_saveexec_b32 s3, s2
	s_cbranch_execz .LBB76_87
; %bb.1:
	s_clause 0x1
	s_load_b96 s[24:26], s[0:1], 0x0
	s_load_b256 s[16:23], s[0:1], 0x18
	s_bfe_u32 s2, ttmp6, 0x4000c
	s_and_b32 s3, ttmp6, 15
	s_add_co_i32 s2, s2, 1
	s_getreg_b32 s4, hwreg(HW_REG_IB_STS2, 6, 4)
	s_mul_i32 s2, ttmp9, s2
	v_mov_b64_e32 v[4:5], 0
	s_add_co_i32 s3, s3, s2
	s_cmp_eq_u32 s4, 0
	v_mov_b32_e32 v17, -1
	s_cselect_b32 s27, ttmp9, s3
	s_wait_kmcnt 0x0
	s_mul_i32 s2, s27, s26
	s_delay_alu instid0(SALU_CYCLE_1) | instskip(SKIP_1) | instid1(VALU_DEP_1)
	v_lshl_or_b32 v6, s2, 8, v0
	s_mov_b32 s2, exec_lo
	v_cmpx_gt_i64_e64 s[24:25], v[6:7]
	s_cbranch_execz .LBB76_3
; %bb.2:
	v_lshlrev_b64_e32 v[4:5], 2, v[6:7]
	s_ashr_i32 s29, s28, 31
	v_bfrev_b32_e32 v12, 1
	s_lshl_b64 s[4:5], s[28:29], 3
	s_delay_alu instid0(VALU_DEP_2)
	v_add_nc_u64_e32 v[8:9], s[18:19], v[4:5]
	v_add_nc_u64_e32 v[10:11], s[20:21], v[4:5]
	;; [unrolled: 1-line block ×3, first 2 shown]
	global_load_b32 v8, v[8:9], off th:TH_LOAD_NT
	s_wait_loadcnt 0x0
	v_ashrrev_i32_e32 v9, 31, v8
	s_delay_alu instid0(VALU_DEP_1) | instskip(NEXT) | instid1(VALU_DEP_1)
	v_lshl_add_u64 v[8:9], v[8:9], 3, s[22:23]
	v_sub_nc_u64_e64 v[8:9], v[8:9], s[4:5]
	global_load_b32 v13, v[10:11], off th:TH_LOAD_NT
	global_load_b64 v[14:15], v[8:9], off
	global_load_b32 v1, v[4:5], off th:TH_LOAD_NT
	s_wait_loadcnt 0x2
	s_wait_xcnt 0x0
	v_dual_mov_b32 v5, 0 :: v_dual_mov_b32 v4, v13
	s_wait_loadcnt 0x1
	v_pk_mul_f32 v[8:9], v[14:15], v[12:13] op_sel:[1,0]
	s_wait_loadcnt 0x0
	v_subrev_nc_u32_e32 v17, s28, v1
	s_delay_alu instid0(VALU_DEP_2)
	v_pk_fma_f32 v[4:5], v[14:15], v[4:5], v[8:9] op_sel_hi:[0,1,1]
.LBB76_3:
	s_or_b32 exec_lo, exec_lo, s2
	v_dual_lshlrev_b32 v8, 2, v0 :: v_dual_lshlrev_b32 v1, 3, v0
	v_cmp_eq_u32_e64 s2, 0, v0
	v_cmp_ne_u32_e64 s3, 0, v0
	ds_store_b32 v8, v17 offset:2048
	ds_store_b64 v1, v[4:5]
	v_or_b32_e32 v20, 0x800, v8
	s_wait_dscnt 0x0
	s_barrier_signal -1
	s_barrier_wait -1
	s_delay_alu instid0(VALU_DEP_1)
	v_add_nc_u32_e32 v21, -4, v20
	s_and_saveexec_b32 s4, s3
	s_cbranch_execz .LBB76_7
; %bb.4:
	ds_load_b32 v8, v21
	s_mov_b32 s5, exec_lo
	s_wait_dscnt 0x0
	v_cmpx_eq_u32_e64 v17, v8
	s_cbranch_execz .LBB76_6
; %bb.5:
	v_add_nc_u32_e32 v8, -8, v1
	ds_load_b64 v[8:9], v8
	s_wait_dscnt 0x0
	v_pk_add_f32 v[4:5], v[4:5], v[8:9]
.LBB76_6:
	s_or_b32 exec_lo, exec_lo, s5
.LBB76_7:
	s_delay_alu instid0(SALU_CYCLE_1)
	s_or_b32 exec_lo, exec_lo, s4
	v_cmp_lt_u32_e64 s4, 1, v0
	v_add_nc_u32_e32 v22, -8, v20
	s_barrier_signal -1
	s_barrier_wait -1
	ds_store_b64 v1, v[4:5]
	s_wait_dscnt 0x0
	s_barrier_signal -1
	s_barrier_wait -1
	s_and_saveexec_b32 s5, s4
	s_cbranch_execz .LBB76_11
; %bb.8:
	ds_load_b32 v8, v22
	s_mov_b32 s6, exec_lo
	s_wait_dscnt 0x0
	v_cmpx_eq_u32_e64 v17, v8
	s_cbranch_execz .LBB76_10
; %bb.9:
	v_add_nc_u32_e32 v8, -16, v1
	ds_load_b64 v[8:9], v8
	s_wait_dscnt 0x0
	v_pk_add_f32 v[4:5], v[4:5], v[8:9]
.LBB76_10:
	s_or_b32 exec_lo, exec_lo, s6
.LBB76_11:
	s_delay_alu instid0(SALU_CYCLE_1)
	s_or_b32 exec_lo, exec_lo, s5
	v_cmp_lt_u32_e64 s5, 3, v0
	v_add_nc_u32_e32 v23, -16, v20
	s_barrier_signal -1
	s_barrier_wait -1
	ds_store_b64 v1, v[4:5]
	s_wait_dscnt 0x0
	s_barrier_signal -1
	s_barrier_wait -1
	s_and_saveexec_b32 s6, s5
	s_cbranch_execz .LBB76_15
; %bb.12:
	ds_load_b32 v8, v23
	s_mov_b32 s7, exec_lo
	s_wait_dscnt 0x0
	v_cmpx_eq_u32_e64 v17, v8
	s_cbranch_execz .LBB76_14
; %bb.13:
	v_subrev_nc_u32_e32 v8, 32, v1
	ds_load_b64 v[8:9], v8
	s_wait_dscnt 0x0
	v_pk_add_f32 v[4:5], v[4:5], v[8:9]
.LBB76_14:
	s_or_b32 exec_lo, exec_lo, s7
.LBB76_15:
	s_delay_alu instid0(SALU_CYCLE_1)
	s_or_b32 exec_lo, exec_lo, s6
	v_cmp_lt_u32_e64 s6, 7, v0
	v_subrev_nc_u32_e32 v24, 32, v20
	s_barrier_signal -1
	s_barrier_wait -1
	ds_store_b64 v1, v[4:5]
	s_wait_dscnt 0x0
	s_barrier_signal -1
	s_barrier_wait -1
	s_and_saveexec_b32 s7, s6
	s_cbranch_execz .LBB76_19
; %bb.16:
	ds_load_b32 v8, v24
	s_mov_b32 s8, exec_lo
	s_wait_dscnt 0x0
	v_cmpx_eq_u32_e64 v17, v8
	s_cbranch_execz .LBB76_18
; %bb.17:
	v_subrev_nc_u32_e32 v8, 64, v1
	ds_load_b64 v[8:9], v8
	s_wait_dscnt 0x0
	v_pk_add_f32 v[4:5], v[4:5], v[8:9]
.LBB76_18:
	s_or_b32 exec_lo, exec_lo, s8
.LBB76_19:
	s_delay_alu instid0(SALU_CYCLE_1)
	s_or_b32 exec_lo, exec_lo, s7
	v_cmp_lt_u32_e64 s7, 15, v0
	v_subrev_nc_u32_e32 v25, 64, v20
	s_barrier_signal -1
	s_barrier_wait -1
	ds_store_b64 v1, v[4:5]
	s_wait_dscnt 0x0
	s_barrier_signal -1
	s_barrier_wait -1
	s_and_saveexec_b32 s8, s7
	s_cbranch_execz .LBB76_23
; %bb.20:
	ds_load_b32 v8, v25
	s_mov_b32 s9, exec_lo
	s_wait_dscnt 0x0
	v_cmpx_eq_u32_e64 v17, v8
	s_cbranch_execz .LBB76_22
; %bb.21:
	v_add_nc_u32_e32 v8, 0xffffff80, v1
	ds_load_b64 v[8:9], v8
	s_wait_dscnt 0x0
	v_pk_add_f32 v[4:5], v[4:5], v[8:9]
.LBB76_22:
	s_or_b32 exec_lo, exec_lo, s9
.LBB76_23:
	s_delay_alu instid0(SALU_CYCLE_1)
	s_or_b32 exec_lo, exec_lo, s8
	v_cmp_lt_u32_e64 s8, 31, v0
	v_add_nc_u32_e32 v26, 0xffffff80, v20
	s_barrier_signal -1
	s_barrier_wait -1
	ds_store_b64 v1, v[4:5]
	s_wait_dscnt 0x0
	s_barrier_signal -1
	s_barrier_wait -1
	s_and_saveexec_b32 s9, s8
	s_cbranch_execz .LBB76_27
; %bb.24:
	ds_load_b32 v8, v26
	s_mov_b32 s10, exec_lo
	s_wait_dscnt 0x0
	v_cmpx_eq_u32_e64 v17, v8
	s_cbranch_execz .LBB76_26
; %bb.25:
	v_add_nc_u32_e32 v8, 0xffffff00, v1
	ds_load_b64 v[8:9], v8
	s_wait_dscnt 0x0
	v_pk_add_f32 v[4:5], v[4:5], v[8:9]
.LBB76_26:
	s_or_b32 exec_lo, exec_lo, s10
.LBB76_27:
	s_delay_alu instid0(SALU_CYCLE_1)
	s_or_b32 exec_lo, exec_lo, s9
	v_cmp_lt_u32_e64 s9, 63, v0
	v_add_nc_u32_e32 v27, 0xffffff00, v20
	s_barrier_signal -1
	s_barrier_wait -1
	ds_store_b64 v1, v[4:5]
	s_wait_dscnt 0x0
	s_barrier_signal -1
	s_barrier_wait -1
	s_and_saveexec_b32 s10, s9
	s_cbranch_execz .LBB76_31
; %bb.28:
	ds_load_b32 v8, v27
	s_mov_b32 s11, exec_lo
	s_wait_dscnt 0x0
	v_cmpx_eq_u32_e64 v17, v8
	s_cbranch_execz .LBB76_30
; %bb.29:
	v_add_nc_u32_e32 v8, 0xfffffe00, v1
	ds_load_b64 v[8:9], v8
	s_wait_dscnt 0x0
	v_pk_add_f32 v[4:5], v[4:5], v[8:9]
.LBB76_30:
	s_or_b32 exec_lo, exec_lo, s11
.LBB76_31:
	s_delay_alu instid0(SALU_CYCLE_1)
	s_or_b32 exec_lo, exec_lo, s10
	s_load_b64 s[30:31], s[0:1], 0x38
	v_cmp_lt_u32_e64 s10, 0x7f, v0
	v_add_nc_u32_e32 v28, 0xfffffe00, v20
	s_barrier_signal -1
	s_barrier_wait -1
	ds_store_b64 v1, v[4:5]
	s_wait_dscnt 0x0
	s_barrier_signal -1
	s_barrier_wait -1
	s_and_saveexec_b32 s11, s10
	s_cbranch_execz .LBB76_35
; %bb.32:
	ds_load_b32 v8, v28
	s_mov_b32 s12, exec_lo
	s_wait_dscnt 0x0
	v_cmpx_eq_u32_e64 v17, v8
	s_cbranch_execz .LBB76_34
; %bb.33:
	v_add_nc_u32_e32 v8, 0xfffffc00, v1
	ds_load_b64 v[8:9], v8
	s_wait_dscnt 0x0
	v_pk_add_f32 v[4:5], v[4:5], v[8:9]
.LBB76_34:
	s_or_b32 exec_lo, exec_lo, s12
.LBB76_35:
	s_delay_alu instid0(SALU_CYCLE_1)
	s_or_b32 exec_lo, exec_lo, s11
	v_cmp_gt_u32_e64 s11, 0xff, v0
	s_barrier_signal -1
	s_barrier_wait -1
	ds_store_b64 v1, v[4:5]
	s_wait_dscnt 0x0
	s_barrier_signal -1
	s_barrier_wait -1
	s_and_saveexec_b32 s13, s11
	s_cbranch_execz .LBB76_38
; %bb.36:
	ds_load_b32 v8, v20 offset:4
	v_cmp_lt_i32_e64 s12, -1, v17
	s_wait_dscnt 0x0
	v_cmp_ne_u32_e32 vcc_lo, v17, v8
	s_and_b32 s12, s12, vcc_lo
	s_delay_alu instid0(SALU_CYCLE_1)
	s_and_b32 exec_lo, exec_lo, s12
	s_cbranch_execz .LBB76_38
; %bb.37:
	s_wait_kmcnt 0x0
	global_load_b64 v[8:9], v17, s[30:31] scale_offset
	v_xor_b32_e32 v10, 0x80000000, v3
	v_mov_b32_e32 v11, v2
	s_wait_loadcnt 0x0
	v_pk_fma_f32 v[8:9], v[2:3], v[4:5], v[8:9] op_sel_hi:[1,0,1]
	s_delay_alu instid0(VALU_DEP_1)
	v_pk_fma_f32 v[8:9], v[10:11], v[4:5], v[8:9] op_sel:[0,1,0]
	global_store_b64 v17, v[8:9], s[30:31] scale_offset
.LBB76_38:
	s_wait_xcnt 0x0
	s_or_b32 exec_lo, exec_lo, s13
	s_load_b128 s[12:15], s[0:1], 0x40
	v_xor_b32_e32 v8, 0x80000000, v3
	s_cmp_lt_i32 s26, 2
	s_cbranch_scc1 .LBB76_85
; %bb.39:
	v_lshl_add_u64 v[4:5], v[6:7], 2, 0x400
	v_add_nc_u64_e32 v[6:7], 0x100, v[6:7]
	s_ashr_i32 s29, s28, 31
	v_dual_add_nc_u32 v29, -8, v1 :: v_dual_add_nc_u32 v30, -16, v1
	s_delay_alu instid0(VALU_DEP_3)
	v_add_nc_u64_e32 v[10:11], s[18:19], v[4:5]
	v_add_nc_u64_e32 v[12:13], s[20:21], v[4:5]
	;; [unrolled: 1-line block ×3, first 2 shown]
	v_subrev_nc_u32_e32 v31, 32, v1
	v_subrev_nc_u32_e32 v32, 64, v1
	v_add_nc_u32_e32 v33, 0xffffff80, v1
	v_dual_mov_b32 v9, v2 :: v_dual_add_nc_u32 v34, 0xffffff00, v1
	v_add_nc_u32_e32 v35, 0xfffffe00, v1
	v_dual_mov_b32 v19, 0 :: v_dual_add_nc_u32 v36, 0xfffffc00, v1
	v_bfrev_b32_e32 v16, 1
	s_wait_xcnt 0x0
	s_lshl_b64 s[0:1], s[28:29], 3
	s_delay_alu instid0(SALU_CYCLE_1)
	s_sub_nc_u64 s[16:17], s[22:23], s[0:1]
	s_add_co_i32 s1, s26, -1
	s_branch .LBB76_41
.LBB76_40:                              ;   in Loop: Header=BB76_41 Depth=1
	s_wait_xcnt 0x0
	s_or_b32 exec_lo, exec_lo, s18
	v_add_nc_u64_e32 v[10:11], 0x400, v[10:11]
	v_add_nc_u64_e32 v[12:13], 0x400, v[12:13]
	;; [unrolled: 1-line block ×4, first 2 shown]
	s_add_co_i32 s1, s1, -1
	s_delay_alu instid0(SALU_CYCLE_1)
	s_cmp_eq_u32 s1, 0
	s_cbranch_scc1 .LBB76_85
.LBB76_41:                              ; =>This Inner Loop Header: Depth=1
	v_mov_b64_e32 v[4:5], 0
	v_mov_b32_e32 v17, -1
	s_mov_b32 s0, exec_lo
	v_cmpx_gt_i64_e64 s[24:25], v[6:7]
	s_cbranch_execz .LBB76_43
; %bb.42:                               ;   in Loop: Header=BB76_41 Depth=1
	global_load_b32 v18, v[10:11], off th:TH_LOAD_NT
	global_load_b32 v17, v[12:13], off th:TH_LOAD_NT
	s_wait_loadcnt 0x1
	global_load_b64 v[4:5], v18, s[16:17] scale_offset
	global_load_b32 v37, v[14:15], off th:TH_LOAD_NT
	s_wait_loadcnt 0x2
	s_wait_xcnt 0x1
	v_mov_b32_e32 v18, v17
	s_wait_loadcnt 0x1
	v_pk_mul_f32 v[38:39], v[4:5], v[16:17] op_sel:[1,0]
	s_wait_loadcnt 0x0
	v_subrev_nc_u32_e32 v17, s28, v37
	s_delay_alu instid0(VALU_DEP_2)
	v_pk_fma_f32 v[4:5], v[4:5], v[18:19], v[38:39] op_sel_hi:[0,1,1]
.LBB76_43:                              ;   in Loop: Header=BB76_41 Depth=1
	s_wait_xcnt 0x0
	s_or_b32 exec_lo, exec_lo, s0
	s_and_saveexec_b32 s0, s2
	s_cbranch_execz .LBB76_50
; %bb.44:                               ;   in Loop: Header=BB76_41 Depth=1
	ds_load_b32 v18, v19 offset:3068
	s_mov_b32 s18, exec_lo
	s_wait_dscnt 0x0
	v_cmpx_ne_u32_e64 v17, v18
	s_xor_b32 s18, exec_lo, s18
	s_cbranch_execz .LBB76_47
; %bb.45:                               ;   in Loop: Header=BB76_41 Depth=1
	v_cmp_gt_i32_e32 vcc_lo, 0, v18
	s_cbranch_vccnz .LBB76_47
; %bb.46:                               ;   in Loop: Header=BB76_41 Depth=1
	s_wait_kmcnt 0x0
	global_load_b64 v[38:39], v18, s[30:31] scale_offset
	ds_load_b64 v[40:41], v19 offset:2040
	s_wait_loadcnt_dscnt 0x0
	v_pk_fma_f32 v[38:39], v[2:3], v[40:41], v[38:39] op_sel_hi:[1,0,1]
	s_delay_alu instid0(VALU_DEP_1)
	v_pk_fma_f32 v[38:39], v[8:9], v[40:41], v[38:39] op_sel:[0,1,0]
	global_store_b64 v18, v[38:39], s[30:31] scale_offset
.LBB76_47:                              ;   in Loop: Header=BB76_41 Depth=1
	s_wait_xcnt 0x0
	s_and_not1_saveexec_b32 s18, s18
	s_cbranch_execz .LBB76_49
; %bb.48:                               ;   in Loop: Header=BB76_41 Depth=1
	ds_load_b64 v[38:39], v19 offset:2040
	s_wait_dscnt 0x0
	v_pk_add_f32 v[4:5], v[4:5], v[38:39]
.LBB76_49:                              ;   in Loop: Header=BB76_41 Depth=1
	s_or_b32 exec_lo, exec_lo, s18
.LBB76_50:                              ;   in Loop: Header=BB76_41 Depth=1
	s_delay_alu instid0(SALU_CYCLE_1)
	s_or_b32 exec_lo, exec_lo, s0
	s_wait_storecnt 0x0
	s_barrier_signal -1
	s_barrier_wait -1
	ds_store_b32 v20, v17
	ds_store_b64 v1, v[4:5]
	s_wait_dscnt 0x0
	s_barrier_signal -1
	s_barrier_wait -1
	s_and_saveexec_b32 s0, s3
	s_cbranch_execz .LBB76_54
; %bb.51:                               ;   in Loop: Header=BB76_41 Depth=1
	ds_load_b32 v18, v21
	s_mov_b32 s18, exec_lo
	s_wait_dscnt 0x0
	v_cmpx_eq_u32_e64 v17, v18
	s_cbranch_execz .LBB76_53
; %bb.52:                               ;   in Loop: Header=BB76_41 Depth=1
	ds_load_b64 v[38:39], v29
	s_wait_dscnt 0x0
	v_pk_add_f32 v[4:5], v[4:5], v[38:39]
.LBB76_53:                              ;   in Loop: Header=BB76_41 Depth=1
	s_or_b32 exec_lo, exec_lo, s18
.LBB76_54:                              ;   in Loop: Header=BB76_41 Depth=1
	s_delay_alu instid0(SALU_CYCLE_1)
	s_or_b32 exec_lo, exec_lo, s0
	s_barrier_signal -1
	s_barrier_wait -1
	ds_store_b64 v1, v[4:5]
	s_wait_dscnt 0x0
	s_barrier_signal -1
	s_barrier_wait -1
	s_and_saveexec_b32 s0, s4
	s_cbranch_execz .LBB76_58
; %bb.55:                               ;   in Loop: Header=BB76_41 Depth=1
	ds_load_b32 v18, v22
	s_mov_b32 s18, exec_lo
	s_wait_dscnt 0x0
	v_cmpx_eq_u32_e64 v17, v18
	s_cbranch_execz .LBB76_57
; %bb.56:                               ;   in Loop: Header=BB76_41 Depth=1
	ds_load_b64 v[38:39], v30
	s_wait_dscnt 0x0
	v_pk_add_f32 v[4:5], v[4:5], v[38:39]
.LBB76_57:                              ;   in Loop: Header=BB76_41 Depth=1
	s_or_b32 exec_lo, exec_lo, s18
.LBB76_58:                              ;   in Loop: Header=BB76_41 Depth=1
	s_delay_alu instid0(SALU_CYCLE_1)
	s_or_b32 exec_lo, exec_lo, s0
	s_barrier_signal -1
	s_barrier_wait -1
	;; [unrolled: 23-line block ×8, first 2 shown]
	ds_store_b64 v1, v[4:5]
	s_wait_dscnt 0x0
	s_barrier_signal -1
	s_barrier_wait -1
	s_and_saveexec_b32 s18, s11
	s_cbranch_execz .LBB76_40
; %bb.83:                               ;   in Loop: Header=BB76_41 Depth=1
	ds_load_b32 v18, v20 offset:4
	v_cmp_lt_i32_e64 s0, -1, v17
	s_wait_dscnt 0x0
	v_cmp_ne_u32_e32 vcc_lo, v17, v18
	s_and_b32 s0, s0, vcc_lo
	s_delay_alu instid0(SALU_CYCLE_1)
	s_and_b32 exec_lo, exec_lo, s0
	s_cbranch_execz .LBB76_40
; %bb.84:                               ;   in Loop: Header=BB76_41 Depth=1
	s_wait_kmcnt 0x0
	global_load_b64 v[38:39], v17, s[30:31] scale_offset
	s_wait_loadcnt 0x0
	v_pk_fma_f32 v[38:39], v[2:3], v[4:5], v[38:39] op_sel_hi:[1,0,1]
	s_delay_alu instid0(VALU_DEP_1)
	v_pk_fma_f32 v[38:39], v[8:9], v[4:5], v[38:39] op_sel:[0,1,0]
	global_store_b64 v17, v[38:39], s[30:31] scale_offset
	s_branch .LBB76_40
.LBB76_85:
	v_cmp_eq_u32_e32 vcc_lo, 0xff, v0
	s_and_b32 exec_lo, exec_lo, vcc_lo
	s_cbranch_execz .LBB76_87
; %bb.86:
	v_dual_mov_b32 v9, v2 :: v_dual_mov_b32 v6, s27
	s_delay_alu instid0(VALU_DEP_1) | instskip(NEXT) | instid1(VALU_DEP_1)
	v_pk_mul_f32 v[0:1], v[4:5], v[8:9] op_sel:[1,0]
	v_pk_fma_f32 v[0:1], v[2:3], v[4:5], v[0:1] op_sel_hi:[1,0,1]
	s_wait_kmcnt 0x0
	s_clause 0x1
	global_store_b32 v6, v17, s[12:13] scale_offset th:TH_STORE_NT
	global_store_b64 v6, v[0:1], s[14:15] scale_offset th:TH_STORE_NT
.LBB76_87:
	s_endpgm
	.section	.rodata,"a",@progbits
	.p2align	6, 0x0
	.amdhsa_kernel _ZN9rocsparseL22coomvn_segmented_loopsILj256Eif21rocsparse_complex_numIfES2_S2_EEvlT0_NS_24const_host_device_scalarIT4_EEPKS3_S8_PKT1_PKT2_PT3_PS3_PS5_21rocsparse_index_base_b
		.amdhsa_group_segment_fixed_size 3072
		.amdhsa_private_segment_fixed_size 0
		.amdhsa_kernarg_size 88
		.amdhsa_user_sgpr_count 2
		.amdhsa_user_sgpr_dispatch_ptr 0
		.amdhsa_user_sgpr_queue_ptr 0
		.amdhsa_user_sgpr_kernarg_segment_ptr 1
		.amdhsa_user_sgpr_dispatch_id 0
		.amdhsa_user_sgpr_kernarg_preload_length 0
		.amdhsa_user_sgpr_kernarg_preload_offset 0
		.amdhsa_user_sgpr_private_segment_size 0
		.amdhsa_wavefront_size32 1
		.amdhsa_uses_dynamic_stack 0
		.amdhsa_enable_private_segment 0
		.amdhsa_system_sgpr_workgroup_id_x 1
		.amdhsa_system_sgpr_workgroup_id_y 0
		.amdhsa_system_sgpr_workgroup_id_z 0
		.amdhsa_system_sgpr_workgroup_info 0
		.amdhsa_system_vgpr_workitem_id 0
		.amdhsa_next_free_vgpr 42
		.amdhsa_next_free_sgpr 32
		.amdhsa_named_barrier_count 0
		.amdhsa_reserve_vcc 1
		.amdhsa_float_round_mode_32 0
		.amdhsa_float_round_mode_16_64 0
		.amdhsa_float_denorm_mode_32 3
		.amdhsa_float_denorm_mode_16_64 3
		.amdhsa_fp16_overflow 0
		.amdhsa_memory_ordered 1
		.amdhsa_forward_progress 1
		.amdhsa_inst_pref_size 24
		.amdhsa_round_robin_scheduling 0
		.amdhsa_exception_fp_ieee_invalid_op 0
		.amdhsa_exception_fp_denorm_src 0
		.amdhsa_exception_fp_ieee_div_zero 0
		.amdhsa_exception_fp_ieee_overflow 0
		.amdhsa_exception_fp_ieee_underflow 0
		.amdhsa_exception_fp_ieee_inexact 0
		.amdhsa_exception_int_div_zero 0
	.end_amdhsa_kernel
	.section	.text._ZN9rocsparseL22coomvn_segmented_loopsILj256Eif21rocsparse_complex_numIfES2_S2_EEvlT0_NS_24const_host_device_scalarIT4_EEPKS3_S8_PKT1_PKT2_PT3_PS3_PS5_21rocsparse_index_base_b,"axG",@progbits,_ZN9rocsparseL22coomvn_segmented_loopsILj256Eif21rocsparse_complex_numIfES2_S2_EEvlT0_NS_24const_host_device_scalarIT4_EEPKS3_S8_PKT1_PKT2_PT3_PS3_PS5_21rocsparse_index_base_b,comdat
.Lfunc_end76:
	.size	_ZN9rocsparseL22coomvn_segmented_loopsILj256Eif21rocsparse_complex_numIfES2_S2_EEvlT0_NS_24const_host_device_scalarIT4_EEPKS3_S8_PKT1_PKT2_PT3_PS3_PS5_21rocsparse_index_base_b, .Lfunc_end76-_ZN9rocsparseL22coomvn_segmented_loopsILj256Eif21rocsparse_complex_numIfES2_S2_EEvlT0_NS_24const_host_device_scalarIT4_EEPKS3_S8_PKT1_PKT2_PT3_PS3_PS5_21rocsparse_index_base_b
                                        ; -- End function
	.set _ZN9rocsparseL22coomvn_segmented_loopsILj256Eif21rocsparse_complex_numIfES2_S2_EEvlT0_NS_24const_host_device_scalarIT4_EEPKS3_S8_PKT1_PKT2_PT3_PS3_PS5_21rocsparse_index_base_b.num_vgpr, 42
	.set _ZN9rocsparseL22coomvn_segmented_loopsILj256Eif21rocsparse_complex_numIfES2_S2_EEvlT0_NS_24const_host_device_scalarIT4_EEPKS3_S8_PKT1_PKT2_PT3_PS3_PS5_21rocsparse_index_base_b.num_agpr, 0
	.set _ZN9rocsparseL22coomvn_segmented_loopsILj256Eif21rocsparse_complex_numIfES2_S2_EEvlT0_NS_24const_host_device_scalarIT4_EEPKS3_S8_PKT1_PKT2_PT3_PS3_PS5_21rocsparse_index_base_b.numbered_sgpr, 32
	.set _ZN9rocsparseL22coomvn_segmented_loopsILj256Eif21rocsparse_complex_numIfES2_S2_EEvlT0_NS_24const_host_device_scalarIT4_EEPKS3_S8_PKT1_PKT2_PT3_PS3_PS5_21rocsparse_index_base_b.num_named_barrier, 0
	.set _ZN9rocsparseL22coomvn_segmented_loopsILj256Eif21rocsparse_complex_numIfES2_S2_EEvlT0_NS_24const_host_device_scalarIT4_EEPKS3_S8_PKT1_PKT2_PT3_PS3_PS5_21rocsparse_index_base_b.private_seg_size, 0
	.set _ZN9rocsparseL22coomvn_segmented_loopsILj256Eif21rocsparse_complex_numIfES2_S2_EEvlT0_NS_24const_host_device_scalarIT4_EEPKS3_S8_PKT1_PKT2_PT3_PS3_PS5_21rocsparse_index_base_b.uses_vcc, 1
	.set _ZN9rocsparseL22coomvn_segmented_loopsILj256Eif21rocsparse_complex_numIfES2_S2_EEvlT0_NS_24const_host_device_scalarIT4_EEPKS3_S8_PKT1_PKT2_PT3_PS3_PS5_21rocsparse_index_base_b.uses_flat_scratch, 0
	.set _ZN9rocsparseL22coomvn_segmented_loopsILj256Eif21rocsparse_complex_numIfES2_S2_EEvlT0_NS_24const_host_device_scalarIT4_EEPKS3_S8_PKT1_PKT2_PT3_PS3_PS5_21rocsparse_index_base_b.has_dyn_sized_stack, 0
	.set _ZN9rocsparseL22coomvn_segmented_loopsILj256Eif21rocsparse_complex_numIfES2_S2_EEvlT0_NS_24const_host_device_scalarIT4_EEPKS3_S8_PKT1_PKT2_PT3_PS3_PS5_21rocsparse_index_base_b.has_recursion, 0
	.set _ZN9rocsparseL22coomvn_segmented_loopsILj256Eif21rocsparse_complex_numIfES2_S2_EEvlT0_NS_24const_host_device_scalarIT4_EEPKS3_S8_PKT1_PKT2_PT3_PS3_PS5_21rocsparse_index_base_b.has_indirect_call, 0
	.section	.AMDGPU.csdata,"",@progbits
; Kernel info:
; codeLenInByte = 2956
; TotalNumSgprs: 34
; NumVgprs: 42
; ScratchSize: 0
; MemoryBound: 0
; FloatMode: 240
; IeeeMode: 1
; LDSByteSize: 3072 bytes/workgroup (compile time only)
; SGPRBlocks: 0
; VGPRBlocks: 2
; NumSGPRsForWavesPerEU: 34
; NumVGPRsForWavesPerEU: 42
; NamedBarCnt: 0
; Occupancy: 16
; WaveLimiterHint : 1
; COMPUTE_PGM_RSRC2:SCRATCH_EN: 0
; COMPUTE_PGM_RSRC2:USER_SGPR: 2
; COMPUTE_PGM_RSRC2:TRAP_HANDLER: 0
; COMPUTE_PGM_RSRC2:TGID_X_EN: 1
; COMPUTE_PGM_RSRC2:TGID_Y_EN: 0
; COMPUTE_PGM_RSRC2:TGID_Z_EN: 0
; COMPUTE_PGM_RSRC2:TIDIG_COMP_CNT: 0
	.section	.text._ZN9rocsparseL13coomvt_kernelILj1024Eif21rocsparse_complex_numIfES2_S2_EEv20rocsparse_operation_lNS_24const_host_device_scalarIT4_EEPKT0_S9_PKT1_PKT2_PT3_21rocsparse_index_base_b,"axG",@progbits,_ZN9rocsparseL13coomvt_kernelILj1024Eif21rocsparse_complex_numIfES2_S2_EEv20rocsparse_operation_lNS_24const_host_device_scalarIT4_EEPKT0_S9_PKT1_PKT2_PT3_21rocsparse_index_base_b,comdat
	.globl	_ZN9rocsparseL13coomvt_kernelILj1024Eif21rocsparse_complex_numIfES2_S2_EEv20rocsparse_operation_lNS_24const_host_device_scalarIT4_EEPKT0_S9_PKT1_PKT2_PT3_21rocsparse_index_base_b ; -- Begin function _ZN9rocsparseL13coomvt_kernelILj1024Eif21rocsparse_complex_numIfES2_S2_EEv20rocsparse_operation_lNS_24const_host_device_scalarIT4_EEPKT0_S9_PKT1_PKT2_PT3_21rocsparse_index_base_b
	.p2align	8
	.type	_ZN9rocsparseL13coomvt_kernelILj1024Eif21rocsparse_complex_numIfES2_S2_EEv20rocsparse_operation_lNS_24const_host_device_scalarIT4_EEPKT0_S9_PKT1_PKT2_PT3_21rocsparse_index_base_b,@function
_ZN9rocsparseL13coomvt_kernelILj1024Eif21rocsparse_complex_numIfES2_S2_EEv20rocsparse_operation_lNS_24const_host_device_scalarIT4_EEPKT0_S9_PKT1_PKT2_PT3_21rocsparse_index_base_b: ; @_ZN9rocsparseL13coomvt_kernelILj1024Eif21rocsparse_complex_numIfES2_S2_EEv20rocsparse_operation_lNS_24const_host_device_scalarIT4_EEPKT0_S9_PKT1_PKT2_PT3_21rocsparse_index_base_b
; %bb.0:
	s_clause 0x1
	s_load_b64 s[8:9], s[0:1], 0x40
	s_load_b128 s[4:7], s[0:1], 0x8
	v_mov_b32_e32 v1, 0
	s_add_nc_u64 s[2:3], s[0:1], 16
	s_wait_kmcnt 0x0
	s_bitcmp1_b32 s9, 0
	s_cselect_b32 s3, s3, s7
	s_cselect_b32 s2, s2, s6
	flat_load_b64 v[2:3], v1, s[2:3]
	s_wait_loadcnt_dscnt 0x0
	v_cmp_neq_f32_e32 vcc_lo, 0, v2
	v_cmp_neq_f32_e64 s2, 0, v3
	s_or_b32 s2, vcc_lo, s2
	s_delay_alu instid0(SALU_CYCLE_1)
	s_and_saveexec_b32 s3, s2
	s_cbranch_execz .LBB77_3
; %bb.1:
	s_load_b32 s2, s[0:1], 0x54
	s_bfe_u32 s3, ttmp6, 0x4000c
	s_and_b32 s6, ttmp6, 15
	s_add_co_i32 s3, s3, 1
	s_getreg_b32 s7, hwreg(HW_REG_IB_STS2, 6, 4)
	s_mul_i32 s3, ttmp9, s3
	s_delay_alu instid0(SALU_CYCLE_1) | instskip(SKIP_4) | instid1(SALU_CYCLE_1)
	s_add_co_i32 s6, s6, s3
	s_wait_kmcnt 0x0
	s_and_b32 s2, s2, 0xffff
	s_cmp_eq_u32 s7, 0
	s_cselect_b32 s3, ttmp9, s6
	v_mad_u32 v0, s3, s2, v0
	s_delay_alu instid0(VALU_DEP_1)
	v_cmp_gt_i64_e32 vcc_lo, s[4:5], v[0:1]
	s_and_b32 exec_lo, exec_lo, vcc_lo
	s_cbranch_execz .LBB77_3
; %bb.2:
	s_load_b256 s[12:19], s[0:1], 0x18
	v_lshlrev_b64_e32 v[0:1], 2, v[0:1]
	s_wait_xcnt 0x0
	s_load_b64 s[0:1], s[0:1], 0x38
	v_mul_f32_e32 v9, 0x80000000, v3
	s_wait_kmcnt 0x0
	s_delay_alu instid0(VALU_DEP_2)
	v_add_nc_u64_e32 v[4:5], s[12:13], v[0:1]
	global_load_b32 v6, v[4:5], off
	s_wait_xcnt 0x0
	v_add_nc_u64_e32 v[4:5], s[14:15], v[0:1]
	v_add_nc_u64_e32 v[0:1], s[16:17], v[0:1]
	global_load_b32 v7, v[4:5], off
	s_wait_loadcnt 0x1
	v_subrev_nc_u32_e32 v6, s8, v6
	global_load_b32 v8, v[0:1], off
	global_load_b64 v[4:5], v6, s[18:19] scale_offset
	s_wait_xcnt 0x0
	v_mul_f32_e32 v6, 0, v2
	s_wait_loadcnt 0x2
	v_subrev_nc_u32_e32 v0, s8, v7
	s_wait_loadcnt 0x1
	s_delay_alu instid0(VALU_DEP_2) | instskip(SKIP_1) | instid1(VALU_DEP_1)
	v_dual_fmac_f32 v6, v3, v8 :: v_dual_fmac_f32 v9, v2, v8
	s_wait_loadcnt 0x0
	v_dual_ashrrev_i32 v1, 31, v0 :: v_dual_mul_f32 v2, v5, -v6
	s_delay_alu instid0(VALU_DEP_2) | instskip(NEXT) | instid1(VALU_DEP_2)
	v_mul_f32_e32 v3, v9, v5
	v_lshl_add_u64 v[0:1], v[0:1], 3, s[0:1]
	s_delay_alu instid0(VALU_DEP_2)
	v_dual_fmac_f32 v2, v9, v4 :: v_dual_fmac_f32 v3, v6, v4
	global_atomic_add_f32 v[0:1], v2, off scope:SCOPE_DEV
	s_wait_xcnt 0x0
	global_atomic_add_f32 v[0:1], v3, off offset:4 scope:SCOPE_DEV
.LBB77_3:
	s_endpgm
	.section	.rodata,"a",@progbits
	.p2align	6, 0x0
	.amdhsa_kernel _ZN9rocsparseL13coomvt_kernelILj1024Eif21rocsparse_complex_numIfES2_S2_EEv20rocsparse_operation_lNS_24const_host_device_scalarIT4_EEPKT0_S9_PKT1_PKT2_PT3_21rocsparse_index_base_b
		.amdhsa_group_segment_fixed_size 0
		.amdhsa_private_segment_fixed_size 0
		.amdhsa_kernarg_size 328
		.amdhsa_user_sgpr_count 2
		.amdhsa_user_sgpr_dispatch_ptr 0
		.amdhsa_user_sgpr_queue_ptr 0
		.amdhsa_user_sgpr_kernarg_segment_ptr 1
		.amdhsa_user_sgpr_dispatch_id 0
		.amdhsa_user_sgpr_kernarg_preload_length 0
		.amdhsa_user_sgpr_kernarg_preload_offset 0
		.amdhsa_user_sgpr_private_segment_size 0
		.amdhsa_wavefront_size32 1
		.amdhsa_uses_dynamic_stack 0
		.amdhsa_enable_private_segment 0
		.amdhsa_system_sgpr_workgroup_id_x 1
		.amdhsa_system_sgpr_workgroup_id_y 0
		.amdhsa_system_sgpr_workgroup_id_z 0
		.amdhsa_system_sgpr_workgroup_info 0
		.amdhsa_system_vgpr_workitem_id 0
		.amdhsa_next_free_vgpr 10
		.amdhsa_next_free_sgpr 20
		.amdhsa_named_barrier_count 0
		.amdhsa_reserve_vcc 1
		.amdhsa_float_round_mode_32 0
		.amdhsa_float_round_mode_16_64 0
		.amdhsa_float_denorm_mode_32 3
		.amdhsa_float_denorm_mode_16_64 3
		.amdhsa_fp16_overflow 0
		.amdhsa_memory_ordered 1
		.amdhsa_forward_progress 1
		.amdhsa_inst_pref_size 4
		.amdhsa_round_robin_scheduling 0
		.amdhsa_exception_fp_ieee_invalid_op 0
		.amdhsa_exception_fp_denorm_src 0
		.amdhsa_exception_fp_ieee_div_zero 0
		.amdhsa_exception_fp_ieee_overflow 0
		.amdhsa_exception_fp_ieee_underflow 0
		.amdhsa_exception_fp_ieee_inexact 0
		.amdhsa_exception_int_div_zero 0
	.end_amdhsa_kernel
	.section	.text._ZN9rocsparseL13coomvt_kernelILj1024Eif21rocsparse_complex_numIfES2_S2_EEv20rocsparse_operation_lNS_24const_host_device_scalarIT4_EEPKT0_S9_PKT1_PKT2_PT3_21rocsparse_index_base_b,"axG",@progbits,_ZN9rocsparseL13coomvt_kernelILj1024Eif21rocsparse_complex_numIfES2_S2_EEv20rocsparse_operation_lNS_24const_host_device_scalarIT4_EEPKT0_S9_PKT1_PKT2_PT3_21rocsparse_index_base_b,comdat
.Lfunc_end77:
	.size	_ZN9rocsparseL13coomvt_kernelILj1024Eif21rocsparse_complex_numIfES2_S2_EEv20rocsparse_operation_lNS_24const_host_device_scalarIT4_EEPKT0_S9_PKT1_PKT2_PT3_21rocsparse_index_base_b, .Lfunc_end77-_ZN9rocsparseL13coomvt_kernelILj1024Eif21rocsparse_complex_numIfES2_S2_EEv20rocsparse_operation_lNS_24const_host_device_scalarIT4_EEPKT0_S9_PKT1_PKT2_PT3_21rocsparse_index_base_b
                                        ; -- End function
	.set _ZN9rocsparseL13coomvt_kernelILj1024Eif21rocsparse_complex_numIfES2_S2_EEv20rocsparse_operation_lNS_24const_host_device_scalarIT4_EEPKT0_S9_PKT1_PKT2_PT3_21rocsparse_index_base_b.num_vgpr, 10
	.set _ZN9rocsparseL13coomvt_kernelILj1024Eif21rocsparse_complex_numIfES2_S2_EEv20rocsparse_operation_lNS_24const_host_device_scalarIT4_EEPKT0_S9_PKT1_PKT2_PT3_21rocsparse_index_base_b.num_agpr, 0
	.set _ZN9rocsparseL13coomvt_kernelILj1024Eif21rocsparse_complex_numIfES2_S2_EEv20rocsparse_operation_lNS_24const_host_device_scalarIT4_EEPKT0_S9_PKT1_PKT2_PT3_21rocsparse_index_base_b.numbered_sgpr, 20
	.set _ZN9rocsparseL13coomvt_kernelILj1024Eif21rocsparse_complex_numIfES2_S2_EEv20rocsparse_operation_lNS_24const_host_device_scalarIT4_EEPKT0_S9_PKT1_PKT2_PT3_21rocsparse_index_base_b.num_named_barrier, 0
	.set _ZN9rocsparseL13coomvt_kernelILj1024Eif21rocsparse_complex_numIfES2_S2_EEv20rocsparse_operation_lNS_24const_host_device_scalarIT4_EEPKT0_S9_PKT1_PKT2_PT3_21rocsparse_index_base_b.private_seg_size, 0
	.set _ZN9rocsparseL13coomvt_kernelILj1024Eif21rocsparse_complex_numIfES2_S2_EEv20rocsparse_operation_lNS_24const_host_device_scalarIT4_EEPKT0_S9_PKT1_PKT2_PT3_21rocsparse_index_base_b.uses_vcc, 1
	.set _ZN9rocsparseL13coomvt_kernelILj1024Eif21rocsparse_complex_numIfES2_S2_EEv20rocsparse_operation_lNS_24const_host_device_scalarIT4_EEPKT0_S9_PKT1_PKT2_PT3_21rocsparse_index_base_b.uses_flat_scratch, 0
	.set _ZN9rocsparseL13coomvt_kernelILj1024Eif21rocsparse_complex_numIfES2_S2_EEv20rocsparse_operation_lNS_24const_host_device_scalarIT4_EEPKT0_S9_PKT1_PKT2_PT3_21rocsparse_index_base_b.has_dyn_sized_stack, 0
	.set _ZN9rocsparseL13coomvt_kernelILj1024Eif21rocsparse_complex_numIfES2_S2_EEv20rocsparse_operation_lNS_24const_host_device_scalarIT4_EEPKT0_S9_PKT1_PKT2_PT3_21rocsparse_index_base_b.has_recursion, 0
	.set _ZN9rocsparseL13coomvt_kernelILj1024Eif21rocsparse_complex_numIfES2_S2_EEv20rocsparse_operation_lNS_24const_host_device_scalarIT4_EEPKT0_S9_PKT1_PKT2_PT3_21rocsparse_index_base_b.has_indirect_call, 0
	.section	.AMDGPU.csdata,"",@progbits
; Kernel info:
; codeLenInByte = 392
; TotalNumSgprs: 22
; NumVgprs: 10
; ScratchSize: 0
; MemoryBound: 0
; FloatMode: 240
; IeeeMode: 1
; LDSByteSize: 0 bytes/workgroup (compile time only)
; SGPRBlocks: 0
; VGPRBlocks: 0
; NumSGPRsForWavesPerEU: 22
; NumVGPRsForWavesPerEU: 10
; NamedBarCnt: 0
; Occupancy: 16
; WaveLimiterHint : 1
; COMPUTE_PGM_RSRC2:SCRATCH_EN: 0
; COMPUTE_PGM_RSRC2:USER_SGPR: 2
; COMPUTE_PGM_RSRC2:TRAP_HANDLER: 0
; COMPUTE_PGM_RSRC2:TGID_X_EN: 1
; COMPUTE_PGM_RSRC2:TGID_Y_EN: 0
; COMPUTE_PGM_RSRC2:TGID_Z_EN: 0
; COMPUTE_PGM_RSRC2:TIDIG_COMP_CNT: 0
	.section	.text._ZN9rocsparseL19coomvn_atomic_loopsILj256ELj1Eif21rocsparse_complex_numIfES2_S2_EEvlNS_24const_host_device_scalarIT5_EEPKT1_S8_PKT2_PKT3_PT4_21rocsparse_index_base_b,"axG",@progbits,_ZN9rocsparseL19coomvn_atomic_loopsILj256ELj1Eif21rocsparse_complex_numIfES2_S2_EEvlNS_24const_host_device_scalarIT5_EEPKT1_S8_PKT2_PKT3_PT4_21rocsparse_index_base_b,comdat
	.globl	_ZN9rocsparseL19coomvn_atomic_loopsILj256ELj1Eif21rocsparse_complex_numIfES2_S2_EEvlNS_24const_host_device_scalarIT5_EEPKT1_S8_PKT2_PKT3_PT4_21rocsparse_index_base_b ; -- Begin function _ZN9rocsparseL19coomvn_atomic_loopsILj256ELj1Eif21rocsparse_complex_numIfES2_S2_EEvlNS_24const_host_device_scalarIT5_EEPKT1_S8_PKT2_PKT3_PT4_21rocsparse_index_base_b
	.p2align	8
	.type	_ZN9rocsparseL19coomvn_atomic_loopsILj256ELj1Eif21rocsparse_complex_numIfES2_S2_EEvlNS_24const_host_device_scalarIT5_EEPKT1_S8_PKT2_PKT3_PT4_21rocsparse_index_base_b,@function
_ZN9rocsparseL19coomvn_atomic_loopsILj256ELj1Eif21rocsparse_complex_numIfES2_S2_EEvlNS_24const_host_device_scalarIT5_EEPKT1_S8_PKT2_PKT3_PT4_21rocsparse_index_base_b: ; @_ZN9rocsparseL19coomvn_atomic_loopsILj256ELj1Eif21rocsparse_complex_numIfES2_S2_EEvlNS_24const_host_device_scalarIT5_EEPKT1_S8_PKT2_PKT3_PT4_21rocsparse_index_base_b
; %bb.0:
	s_clause 0x1
	s_load_b64 s[8:9], s[0:1], 0x38
	s_load_b128 s[4:7], s[0:1], 0x0
	v_mov_b32_e32 v9, 0
	s_or_b64 s[2:3], s[0:1], 8
	s_wait_kmcnt 0x0
	s_bitcmp1_b32 s9, 0
	s_cselect_b32 s3, s3, s7
	s_cselect_b32 s2, s2, s6
	flat_load_b64 v[2:3], v9, s[2:3]
	s_wait_loadcnt_dscnt 0x0
	v_cmp_neq_f32_e32 vcc_lo, 0, v2
	v_cmp_neq_f32_e64 s2, 0, v3
	s_or_b32 s2, vcc_lo, s2
	s_delay_alu instid0(SALU_CYCLE_1)
	s_and_saveexec_b32 s3, s2
	s_cbranch_execz .LBB78_40
; %bb.1:
	s_bfe_u32 s2, ttmp6, 0x4000c
	s_and_b32 s3, ttmp6, 15
	s_add_co_i32 s2, s2, 1
	s_getreg_b32 s6, hwreg(HW_REG_IB_STS2, 6, 4)
	s_mul_i32 s2, ttmp9, s2
	v_mov_b64_e32 v[4:5], 0
	s_add_co_i32 s3, s3, s2
	s_cmp_eq_u32 s6, 0
	v_mov_b32_e32 v6, -1
	s_cselect_b32 s2, ttmp9, s3
	s_delay_alu instid0(SALU_CYCLE_1) | instskip(SKIP_1) | instid1(VALU_DEP_1)
	v_lshl_or_b32 v8, s2, 8, v0
	s_mov_b32 s2, exec_lo
	v_cmpx_gt_i64_e64 s[4:5], v[8:9]
	s_cbranch_execz .LBB78_3
; %bb.2:
	s_load_b256 s[12:19], s[0:1], 0x10
	v_lshlrev_b64_e32 v[4:5], 2, v[8:9]
	v_bfrev_b32_e32 v8, 1
	s_wait_kmcnt 0x0
	s_delay_alu instid0(VALU_DEP_2)
	v_add_nc_u64_e32 v[6:7], s[14:15], v[4:5]
	global_load_b32 v1, v[6:7], off th:TH_LOAD_NT
	s_wait_xcnt 0x0
	v_add_nc_u64_e32 v[6:7], s[16:17], v[4:5]
	v_add_nc_u64_e32 v[4:5], s[12:13], v[4:5]
	s_wait_loadcnt 0x0
	v_subrev_nc_u32_e32 v1, s8, v1
	global_load_b32 v9, v[6:7], off th:TH_LOAD_NT
	global_load_b64 v[10:11], v1, s[18:19] scale_offset
	global_load_b32 v14, v[4:5], off th:TH_LOAD_NT
	s_wait_loadcnt 0x2
	s_wait_xcnt 0x0
	v_dual_mov_b32 v5, 0 :: v_dual_mov_b32 v4, v9
	s_wait_loadcnt 0x1
	v_pk_mul_f32 v[12:13], v[10:11], v[8:9] op_sel:[1,0]
	s_wait_loadcnt 0x0
	v_subrev_nc_u32_e32 v6, s8, v14
	s_delay_alu instid0(VALU_DEP_2)
	v_pk_fma_f32 v[4:5], v[10:11], v[4:5], v[12:13] op_sel_hi:[0,1,1]
.LBB78_3:
	s_or_b32 exec_lo, exec_lo, s2
	v_dual_lshlrev_b32 v8, 2, v0 :: v_dual_lshlrev_b32 v7, 3, v0
	s_mov_b32 s2, exec_lo
	ds_store_b32 v8, v6 offset:2048
	ds_store_b64 v7, v[4:5]
	v_or_b32_e32 v1, 0x800, v8
	s_wait_dscnt 0x0
	s_barrier_signal -1
	s_barrier_wait -1
	v_cmpx_ne_u32_e32 0, v0
	s_cbranch_execz .LBB78_7
; %bb.4:
	v_add_nc_u32_e32 v8, -4, v1
	s_mov_b32 s3, exec_lo
	ds_load_b32 v8, v8
	s_wait_dscnt 0x0
	v_cmpx_eq_u32_e64 v6, v8
	s_cbranch_execz .LBB78_6
; %bb.5:
	v_add_nc_u32_e32 v8, -8, v7
	ds_load_b64 v[8:9], v8
	s_wait_dscnt 0x0
	v_pk_add_f32 v[4:5], v[4:5], v[8:9]
.LBB78_6:
	s_or_b32 exec_lo, exec_lo, s3
.LBB78_7:
	s_delay_alu instid0(SALU_CYCLE_1) | instskip(NEXT) | instid1(SALU_CYCLE_1)
	s_or_b32 exec_lo, exec_lo, s2
	s_mov_b32 s2, exec_lo
	s_barrier_signal -1
	s_barrier_wait -1
	ds_store_b64 v7, v[4:5]
	s_wait_dscnt 0x0
	s_barrier_signal -1
	s_barrier_wait -1
	v_cmpx_lt_u32_e32 1, v0
	s_cbranch_execz .LBB78_11
; %bb.8:
	v_add_nc_u32_e32 v8, -8, v1
	s_mov_b32 s3, exec_lo
	ds_load_b32 v8, v8
	s_wait_dscnt 0x0
	v_cmpx_eq_u32_e64 v6, v8
	s_cbranch_execz .LBB78_10
; %bb.9:
	v_add_nc_u32_e32 v8, -16, v7
	ds_load_b64 v[8:9], v8
	s_wait_dscnt 0x0
	v_pk_add_f32 v[4:5], v[4:5], v[8:9]
.LBB78_10:
	s_or_b32 exec_lo, exec_lo, s3
.LBB78_11:
	s_delay_alu instid0(SALU_CYCLE_1) | instskip(NEXT) | instid1(SALU_CYCLE_1)
	s_or_b32 exec_lo, exec_lo, s2
	s_mov_b32 s2, exec_lo
	s_barrier_signal -1
	s_barrier_wait -1
	ds_store_b64 v7, v[4:5]
	s_wait_dscnt 0x0
	s_barrier_signal -1
	s_barrier_wait -1
	v_cmpx_lt_u32_e32 3, v0
	s_cbranch_execz .LBB78_15
; %bb.12:
	v_add_nc_u32_e32 v8, -16, v1
	s_mov_b32 s3, exec_lo
	ds_load_b32 v8, v8
	s_wait_dscnt 0x0
	v_cmpx_eq_u32_e64 v6, v8
	s_cbranch_execz .LBB78_14
; %bb.13:
	v_subrev_nc_u32_e32 v8, 32, v7
	ds_load_b64 v[8:9], v8
	s_wait_dscnt 0x0
	v_pk_add_f32 v[4:5], v[4:5], v[8:9]
.LBB78_14:
	s_or_b32 exec_lo, exec_lo, s3
.LBB78_15:
	s_delay_alu instid0(SALU_CYCLE_1) | instskip(NEXT) | instid1(SALU_CYCLE_1)
	s_or_b32 exec_lo, exec_lo, s2
	s_mov_b32 s2, exec_lo
	s_barrier_signal -1
	s_barrier_wait -1
	ds_store_b64 v7, v[4:5]
	s_wait_dscnt 0x0
	s_barrier_signal -1
	s_barrier_wait -1
	v_cmpx_lt_u32_e32 7, v0
	s_cbranch_execz .LBB78_19
; %bb.16:
	v_subrev_nc_u32_e32 v8, 32, v1
	s_mov_b32 s3, exec_lo
	ds_load_b32 v8, v8
	s_wait_dscnt 0x0
	v_cmpx_eq_u32_e64 v6, v8
	s_cbranch_execz .LBB78_18
; %bb.17:
	v_subrev_nc_u32_e32 v8, 64, v7
	ds_load_b64 v[8:9], v8
	s_wait_dscnt 0x0
	v_pk_add_f32 v[4:5], v[4:5], v[8:9]
.LBB78_18:
	s_or_b32 exec_lo, exec_lo, s3
.LBB78_19:
	s_delay_alu instid0(SALU_CYCLE_1) | instskip(NEXT) | instid1(SALU_CYCLE_1)
	s_or_b32 exec_lo, exec_lo, s2
	s_mov_b32 s2, exec_lo
	s_barrier_signal -1
	s_barrier_wait -1
	ds_store_b64 v7, v[4:5]
	s_wait_dscnt 0x0
	s_barrier_signal -1
	s_barrier_wait -1
	v_cmpx_lt_u32_e32 15, v0
	s_cbranch_execz .LBB78_23
; %bb.20:
	v_subrev_nc_u32_e32 v8, 64, v1
	s_mov_b32 s3, exec_lo
	ds_load_b32 v8, v8
	s_wait_dscnt 0x0
	v_cmpx_eq_u32_e64 v6, v8
	s_cbranch_execz .LBB78_22
; %bb.21:
	v_add_nc_u32_e32 v8, 0xffffff80, v7
	ds_load_b64 v[8:9], v8
	s_wait_dscnt 0x0
	v_pk_add_f32 v[4:5], v[4:5], v[8:9]
.LBB78_22:
	s_or_b32 exec_lo, exec_lo, s3
.LBB78_23:
	s_delay_alu instid0(SALU_CYCLE_1) | instskip(NEXT) | instid1(SALU_CYCLE_1)
	s_or_b32 exec_lo, exec_lo, s2
	s_mov_b32 s2, exec_lo
	s_barrier_signal -1
	s_barrier_wait -1
	ds_store_b64 v7, v[4:5]
	s_wait_dscnt 0x0
	s_barrier_signal -1
	s_barrier_wait -1
	v_cmpx_lt_u32_e32 31, v0
	s_cbranch_execz .LBB78_27
; %bb.24:
	v_add_nc_u32_e32 v8, 0xffffff80, v1
	s_mov_b32 s3, exec_lo
	ds_load_b32 v8, v8
	s_wait_dscnt 0x0
	v_cmpx_eq_u32_e64 v6, v8
	s_cbranch_execz .LBB78_26
; %bb.25:
	v_add_nc_u32_e32 v8, 0xffffff00, v7
	ds_load_b64 v[8:9], v8
	s_wait_dscnt 0x0
	v_pk_add_f32 v[4:5], v[4:5], v[8:9]
.LBB78_26:
	s_or_b32 exec_lo, exec_lo, s3
.LBB78_27:
	s_delay_alu instid0(SALU_CYCLE_1) | instskip(NEXT) | instid1(SALU_CYCLE_1)
	s_or_b32 exec_lo, exec_lo, s2
	s_mov_b32 s2, exec_lo
	s_barrier_signal -1
	s_barrier_wait -1
	ds_store_b64 v7, v[4:5]
	s_wait_dscnt 0x0
	s_barrier_signal -1
	s_barrier_wait -1
	v_cmpx_lt_u32_e32 63, v0
	s_cbranch_execz .LBB78_31
; %bb.28:
	v_add_nc_u32_e32 v8, 0xffffff00, v1
	s_mov_b32 s3, exec_lo
	ds_load_b32 v8, v8
	s_wait_dscnt 0x0
	v_cmpx_eq_u32_e64 v6, v8
	s_cbranch_execz .LBB78_30
; %bb.29:
	v_add_nc_u32_e32 v8, 0xfffffe00, v7
	ds_load_b64 v[8:9], v8
	s_wait_dscnt 0x0
	v_pk_add_f32 v[4:5], v[4:5], v[8:9]
.LBB78_30:
	s_or_b32 exec_lo, exec_lo, s3
.LBB78_31:
	s_delay_alu instid0(SALU_CYCLE_1)
	s_or_b32 exec_lo, exec_lo, s2
	s_load_b64 s[2:3], s[0:1], 0x30
	s_wait_xcnt 0x0
	s_mov_b32 s0, exec_lo
	s_barrier_signal -1
	s_barrier_wait -1
	ds_store_b64 v7, v[4:5]
	s_wait_dscnt 0x0
	s_barrier_signal -1
	s_barrier_wait -1
	v_cmpx_lt_u32_e32 0x7f, v0
	s_cbranch_execz .LBB78_35
; %bb.32:
	v_add_nc_u32_e32 v8, 0xfffffe00, v1
	s_mov_b32 s1, exec_lo
	ds_load_b32 v8, v8
	s_wait_dscnt 0x0
	v_cmpx_eq_u32_e64 v6, v8
	s_cbranch_execz .LBB78_34
; %bb.33:
	v_add_nc_u32_e32 v8, 0xfffffc00, v7
	ds_load_b64 v[8:9], v8
	s_wait_dscnt 0x0
	v_pk_add_f32 v[4:5], v[4:5], v[8:9]
.LBB78_34:
	s_or_b32 exec_lo, exec_lo, s1
.LBB78_35:
	s_delay_alu instid0(SALU_CYCLE_1) | instskip(NEXT) | instid1(SALU_CYCLE_1)
	s_or_b32 exec_lo, exec_lo, s0
	s_mov_b32 s1, exec_lo
	s_barrier_signal -1
	s_barrier_wait -1
	ds_store_b64 v7, v[4:5]
	s_wait_dscnt 0x0
	s_barrier_signal -1
	s_barrier_wait -1
	v_cmpx_gt_u32_e32 0xff, v0
	s_cbranch_execz .LBB78_38
; %bb.36:
	ds_load_b32 v1, v1 offset:4
	v_cmp_lt_i32_e64 s0, -1, v6
	s_wait_dscnt 0x0
	v_cmp_ne_u32_e32 vcc_lo, v6, v1
	s_and_b32 s0, s0, vcc_lo
	s_delay_alu instid0(SALU_CYCLE_1)
	s_and_b32 exec_lo, exec_lo, s0
	s_cbranch_execz .LBB78_38
; %bb.37:
	v_dual_mov_b32 v7, 0 :: v_dual_mul_f32 v1, v5, -v3
	v_mul_f32_e32 v10, v2, v5
	s_wait_kmcnt 0x0
	s_delay_alu instid0(VALU_DEP_2) | instskip(NEXT) | instid1(VALU_DEP_2)
	v_lshl_add_u64 v[8:9], v[6:7], 3, s[2:3]
	v_dual_fmac_f32 v1, v2, v4 :: v_dual_fmac_f32 v10, v3, v4
	global_atomic_add_f32 v[8:9], v1, off scope:SCOPE_DEV
	s_wait_xcnt 0x0
	global_atomic_add_f32 v[8:9], v10, off offset:4 scope:SCOPE_DEV
.LBB78_38:
	s_wait_xcnt 0x0
	s_or_b32 exec_lo, exec_lo, s1
	v_cmp_eq_u32_e32 vcc_lo, 0xff, v0
	v_cmp_lt_i32_e64 s0, -1, v6
	s_and_b32 s0, vcc_lo, s0
	s_delay_alu instid0(SALU_CYCLE_1)
	s_and_b32 exec_lo, exec_lo, s0
	s_cbranch_execz .LBB78_40
; %bb.39:
	v_dual_mov_b32 v7, 0 :: v_dual_mul_f32 v8, v5, -v3
	v_mul_f32_e32 v5, v2, v5
	s_wait_kmcnt 0x0
	s_delay_alu instid0(VALU_DEP_2) | instskip(NEXT) | instid1(VALU_DEP_2)
	v_lshl_add_u64 v[0:1], v[6:7], 3, s[2:3]
	v_dual_fmac_f32 v8, v2, v4 :: v_dual_fmac_f32 v5, v3, v4
	global_atomic_add_f32 v[0:1], v8, off scope:SCOPE_DEV
	s_wait_xcnt 0x0
	global_atomic_add_f32 v[0:1], v5, off offset:4 scope:SCOPE_DEV
.LBB78_40:
	s_endpgm
	.section	.rodata,"a",@progbits
	.p2align	6, 0x0
	.amdhsa_kernel _ZN9rocsparseL19coomvn_atomic_loopsILj256ELj1Eif21rocsparse_complex_numIfES2_S2_EEvlNS_24const_host_device_scalarIT5_EEPKT1_S8_PKT2_PKT3_PT4_21rocsparse_index_base_b
		.amdhsa_group_segment_fixed_size 3072
		.amdhsa_private_segment_fixed_size 0
		.amdhsa_kernarg_size 64
		.amdhsa_user_sgpr_count 2
		.amdhsa_user_sgpr_dispatch_ptr 0
		.amdhsa_user_sgpr_queue_ptr 0
		.amdhsa_user_sgpr_kernarg_segment_ptr 1
		.amdhsa_user_sgpr_dispatch_id 0
		.amdhsa_user_sgpr_kernarg_preload_length 0
		.amdhsa_user_sgpr_kernarg_preload_offset 0
		.amdhsa_user_sgpr_private_segment_size 0
		.amdhsa_wavefront_size32 1
		.amdhsa_uses_dynamic_stack 0
		.amdhsa_enable_private_segment 0
		.amdhsa_system_sgpr_workgroup_id_x 1
		.amdhsa_system_sgpr_workgroup_id_y 0
		.amdhsa_system_sgpr_workgroup_id_z 0
		.amdhsa_system_sgpr_workgroup_info 0
		.amdhsa_system_vgpr_workitem_id 0
		.amdhsa_next_free_vgpr 15
		.amdhsa_next_free_sgpr 20
		.amdhsa_named_barrier_count 0
		.amdhsa_reserve_vcc 1
		.amdhsa_float_round_mode_32 0
		.amdhsa_float_round_mode_16_64 0
		.amdhsa_float_denorm_mode_32 3
		.amdhsa_float_denorm_mode_16_64 3
		.amdhsa_fp16_overflow 0
		.amdhsa_memory_ordered 1
		.amdhsa_forward_progress 1
		.amdhsa_inst_pref_size 12
		.amdhsa_round_robin_scheduling 0
		.amdhsa_exception_fp_ieee_invalid_op 0
		.amdhsa_exception_fp_denorm_src 0
		.amdhsa_exception_fp_ieee_div_zero 0
		.amdhsa_exception_fp_ieee_overflow 0
		.amdhsa_exception_fp_ieee_underflow 0
		.amdhsa_exception_fp_ieee_inexact 0
		.amdhsa_exception_int_div_zero 0
	.end_amdhsa_kernel
	.section	.text._ZN9rocsparseL19coomvn_atomic_loopsILj256ELj1Eif21rocsparse_complex_numIfES2_S2_EEvlNS_24const_host_device_scalarIT5_EEPKT1_S8_PKT2_PKT3_PT4_21rocsparse_index_base_b,"axG",@progbits,_ZN9rocsparseL19coomvn_atomic_loopsILj256ELj1Eif21rocsparse_complex_numIfES2_S2_EEvlNS_24const_host_device_scalarIT5_EEPKT1_S8_PKT2_PKT3_PT4_21rocsparse_index_base_b,comdat
.Lfunc_end78:
	.size	_ZN9rocsparseL19coomvn_atomic_loopsILj256ELj1Eif21rocsparse_complex_numIfES2_S2_EEvlNS_24const_host_device_scalarIT5_EEPKT1_S8_PKT2_PKT3_PT4_21rocsparse_index_base_b, .Lfunc_end78-_ZN9rocsparseL19coomvn_atomic_loopsILj256ELj1Eif21rocsparse_complex_numIfES2_S2_EEvlNS_24const_host_device_scalarIT5_EEPKT1_S8_PKT2_PKT3_PT4_21rocsparse_index_base_b
                                        ; -- End function
	.set _ZN9rocsparseL19coomvn_atomic_loopsILj256ELj1Eif21rocsparse_complex_numIfES2_S2_EEvlNS_24const_host_device_scalarIT5_EEPKT1_S8_PKT2_PKT3_PT4_21rocsparse_index_base_b.num_vgpr, 15
	.set _ZN9rocsparseL19coomvn_atomic_loopsILj256ELj1Eif21rocsparse_complex_numIfES2_S2_EEvlNS_24const_host_device_scalarIT5_EEPKT1_S8_PKT2_PKT3_PT4_21rocsparse_index_base_b.num_agpr, 0
	.set _ZN9rocsparseL19coomvn_atomic_loopsILj256ELj1Eif21rocsparse_complex_numIfES2_S2_EEvlNS_24const_host_device_scalarIT5_EEPKT1_S8_PKT2_PKT3_PT4_21rocsparse_index_base_b.numbered_sgpr, 20
	.set _ZN9rocsparseL19coomvn_atomic_loopsILj256ELj1Eif21rocsparse_complex_numIfES2_S2_EEvlNS_24const_host_device_scalarIT5_EEPKT1_S8_PKT2_PKT3_PT4_21rocsparse_index_base_b.num_named_barrier, 0
	.set _ZN9rocsparseL19coomvn_atomic_loopsILj256ELj1Eif21rocsparse_complex_numIfES2_S2_EEvlNS_24const_host_device_scalarIT5_EEPKT1_S8_PKT2_PKT3_PT4_21rocsparse_index_base_b.private_seg_size, 0
	.set _ZN9rocsparseL19coomvn_atomic_loopsILj256ELj1Eif21rocsparse_complex_numIfES2_S2_EEvlNS_24const_host_device_scalarIT5_EEPKT1_S8_PKT2_PKT3_PT4_21rocsparse_index_base_b.uses_vcc, 1
	.set _ZN9rocsparseL19coomvn_atomic_loopsILj256ELj1Eif21rocsparse_complex_numIfES2_S2_EEvlNS_24const_host_device_scalarIT5_EEPKT1_S8_PKT2_PKT3_PT4_21rocsparse_index_base_b.uses_flat_scratch, 0
	.set _ZN9rocsparseL19coomvn_atomic_loopsILj256ELj1Eif21rocsparse_complex_numIfES2_S2_EEvlNS_24const_host_device_scalarIT5_EEPKT1_S8_PKT2_PKT3_PT4_21rocsparse_index_base_b.has_dyn_sized_stack, 0
	.set _ZN9rocsparseL19coomvn_atomic_loopsILj256ELj1Eif21rocsparse_complex_numIfES2_S2_EEvlNS_24const_host_device_scalarIT5_EEPKT1_S8_PKT2_PKT3_PT4_21rocsparse_index_base_b.has_recursion, 0
	.set _ZN9rocsparseL19coomvn_atomic_loopsILj256ELj1Eif21rocsparse_complex_numIfES2_S2_EEvlNS_24const_host_device_scalarIT5_EEPKT1_S8_PKT2_PKT3_PT4_21rocsparse_index_base_b.has_indirect_call, 0
	.section	.AMDGPU.csdata,"",@progbits
; Kernel info:
; codeLenInByte = 1500
; TotalNumSgprs: 22
; NumVgprs: 15
; ScratchSize: 0
; MemoryBound: 0
; FloatMode: 240
; IeeeMode: 1
; LDSByteSize: 3072 bytes/workgroup (compile time only)
; SGPRBlocks: 0
; VGPRBlocks: 0
; NumSGPRsForWavesPerEU: 22
; NumVGPRsForWavesPerEU: 15
; NamedBarCnt: 0
; Occupancy: 16
; WaveLimiterHint : 1
; COMPUTE_PGM_RSRC2:SCRATCH_EN: 0
; COMPUTE_PGM_RSRC2:USER_SGPR: 2
; COMPUTE_PGM_RSRC2:TRAP_HANDLER: 0
; COMPUTE_PGM_RSRC2:TGID_X_EN: 1
; COMPUTE_PGM_RSRC2:TGID_Y_EN: 0
; COMPUTE_PGM_RSRC2:TGID_Z_EN: 0
; COMPUTE_PGM_RSRC2:TIDIG_COMP_CNT: 0
	.section	.text._ZN9rocsparseL19coomvn_atomic_loopsILj256ELj2Eif21rocsparse_complex_numIfES2_S2_EEvlNS_24const_host_device_scalarIT5_EEPKT1_S8_PKT2_PKT3_PT4_21rocsparse_index_base_b,"axG",@progbits,_ZN9rocsparseL19coomvn_atomic_loopsILj256ELj2Eif21rocsparse_complex_numIfES2_S2_EEvlNS_24const_host_device_scalarIT5_EEPKT1_S8_PKT2_PKT3_PT4_21rocsparse_index_base_b,comdat
	.globl	_ZN9rocsparseL19coomvn_atomic_loopsILj256ELj2Eif21rocsparse_complex_numIfES2_S2_EEvlNS_24const_host_device_scalarIT5_EEPKT1_S8_PKT2_PKT3_PT4_21rocsparse_index_base_b ; -- Begin function _ZN9rocsparseL19coomvn_atomic_loopsILj256ELj2Eif21rocsparse_complex_numIfES2_S2_EEvlNS_24const_host_device_scalarIT5_EEPKT1_S8_PKT2_PKT3_PT4_21rocsparse_index_base_b
	.p2align	8
	.type	_ZN9rocsparseL19coomvn_atomic_loopsILj256ELj2Eif21rocsparse_complex_numIfES2_S2_EEvlNS_24const_host_device_scalarIT5_EEPKT1_S8_PKT2_PKT3_PT4_21rocsparse_index_base_b,@function
_ZN9rocsparseL19coomvn_atomic_loopsILj256ELj2Eif21rocsparse_complex_numIfES2_S2_EEvlNS_24const_host_device_scalarIT5_EEPKT1_S8_PKT2_PKT3_PT4_21rocsparse_index_base_b: ; @_ZN9rocsparseL19coomvn_atomic_loopsILj256ELj2Eif21rocsparse_complex_numIfES2_S2_EEvlNS_24const_host_device_scalarIT5_EEPKT1_S8_PKT2_PKT3_PT4_21rocsparse_index_base_b
; %bb.0:
	s_clause 0x1
	s_load_b64 s[24:25], s[0:1], 0x38
	s_load_b128 s[20:23], s[0:1], 0x0
	v_mov_b32_e32 v5, 0
	s_or_b64 s[2:3], s[0:1], 8
	s_wait_kmcnt 0x0
	s_bitcmp1_b32 s25, 0
	s_cselect_b32 s3, s3, s23
	s_cselect_b32 s2, s2, s22
	flat_load_b64 v[2:3], v5, s[2:3]
	s_wait_loadcnt_dscnt 0x0
	v_cmp_neq_f32_e32 vcc_lo, 0, v2
	v_cmp_neq_f32_e64 s2, 0, v3
	s_or_b32 s2, vcc_lo, s2
	s_delay_alu instid0(SALU_CYCLE_1)
	s_and_saveexec_b32 s3, s2
	s_cbranch_execz .LBB79_92
; %bb.1:
	s_bfe_u32 s2, ttmp6, 0x4000c
	s_load_b256 s[12:19], s[0:1], 0x10
	s_add_co_i32 s2, s2, 1
	s_and_b32 s3, ttmp6, 15
	s_mul_i32 s2, ttmp9, s2
	s_getreg_b32 s4, hwreg(HW_REG_IB_STS2, 6, 4)
	s_add_co_i32 s3, s3, s2
	s_cmp_eq_u32 s4, 0
	v_mov_b64_e32 v[6:7], 0
	s_cselect_b32 s2, ttmp9, s3
	v_mov_b32_e32 v10, -1
	v_lshl_or_b32 v4, s2, 9, v0
	s_mov_b32 s2, exec_lo
	s_delay_alu instid0(VALU_DEP_1)
	v_lshlrev_b64_e32 v[8:9], 2, v[4:5]
	v_cmpx_gt_i64_e64 s[20:21], v[4:5]
	s_cbranch_execz .LBB79_3
; %bb.2:
	s_wait_kmcnt 0x0
	s_delay_alu instid0(VALU_DEP_2)
	v_add_nc_u64_e32 v[6:7], s[14:15], v[8:9]
	v_add_nc_u64_e32 v[10:11], s[12:13], v[8:9]
	v_bfrev_b32_e32 v12, 1
	global_load_b32 v1, v[6:7], off th:TH_LOAD_NT
	s_wait_xcnt 0x0
	v_add_nc_u64_e32 v[6:7], s[16:17], v[8:9]
	s_wait_loadcnt 0x0
	v_subrev_nc_u32_e32 v1, s24, v1
	global_load_b32 v13, v[6:7], off th:TH_LOAD_NT
	global_load_b64 v[14:15], v1, s[18:19] scale_offset
	global_load_b32 v18, v[10:11], off th:TH_LOAD_NT
	s_wait_loadcnt 0x2
	s_wait_xcnt 0x2
	v_dual_mov_b32 v7, 0 :: v_dual_mov_b32 v6, v13
	s_wait_loadcnt 0x1
	v_pk_mul_f32 v[16:17], v[14:15], v[12:13] op_sel:[1,0]
	s_wait_loadcnt 0x0
	v_subrev_nc_u32_e32 v10, s24, v18
	s_delay_alu instid0(VALU_DEP_2)
	v_pk_fma_f32 v[6:7], v[14:15], v[6:7], v[16:17] op_sel_hi:[0,1,1]
.LBB79_3:
	s_or_b32 exec_lo, exec_lo, s2
	v_dual_lshlrev_b32 v11, 2, v0 :: v_dual_lshlrev_b32 v12, 3, v0
	v_cmp_eq_u32_e64 s8, 0, v0
	v_cmp_ne_u32_e32 vcc_lo, 0, v0
	ds_store_b32 v11, v10 offset:2048
	ds_store_b64 v12, v[6:7]
	v_or_b32_e32 v1, 0x800, v11
	s_wait_dscnt 0x0
	s_barrier_signal -1
	s_barrier_wait -1
	s_delay_alu instid0(VALU_DEP_1)
	v_add_nc_u32_e32 v13, -4, v1
	s_and_saveexec_b32 s3, vcc_lo
	s_cbranch_execz .LBB79_7
; %bb.4:
	ds_load_b32 v11, v13
	s_mov_b32 s4, exec_lo
	s_wait_dscnt 0x0
	v_cmpx_eq_u32_e64 v10, v11
	s_cbranch_execz .LBB79_6
; %bb.5:
	v_add_nc_u32_e32 v11, -8, v12
	ds_load_b64 v[14:15], v11
	s_wait_dscnt 0x0
	v_pk_add_f32 v[6:7], v[6:7], v[14:15]
.LBB79_6:
	s_or_b32 exec_lo, exec_lo, s4
.LBB79_7:
	s_delay_alu instid0(SALU_CYCLE_1)
	s_or_b32 exec_lo, exec_lo, s3
	v_cmp_lt_u32_e64 s2, 1, v0
	v_add_nc_u32_e32 v14, -8, v1
	s_barrier_signal -1
	s_barrier_wait -1
	ds_store_b64 v12, v[6:7]
	s_wait_dscnt 0x0
	s_barrier_signal -1
	s_barrier_wait -1
	s_and_saveexec_b32 s4, s2
	s_cbranch_execz .LBB79_11
; %bb.8:
	ds_load_b32 v11, v14
	s_mov_b32 s5, exec_lo
	s_wait_dscnt 0x0
	v_cmpx_eq_u32_e64 v10, v11
	s_cbranch_execz .LBB79_10
; %bb.9:
	v_add_nc_u32_e32 v11, -16, v12
	ds_load_b64 v[16:17], v11
	s_wait_dscnt 0x0
	v_pk_add_f32 v[6:7], v[6:7], v[16:17]
.LBB79_10:
	s_or_b32 exec_lo, exec_lo, s5
.LBB79_11:
	s_delay_alu instid0(SALU_CYCLE_1)
	s_or_b32 exec_lo, exec_lo, s4
	v_cmp_lt_u32_e64 s3, 3, v0
	v_add_nc_u32_e32 v15, -16, v1
	s_barrier_signal -1
	s_barrier_wait -1
	ds_store_b64 v12, v[6:7]
	s_wait_dscnt 0x0
	s_barrier_signal -1
	s_barrier_wait -1
	s_and_saveexec_b32 s5, s3
	s_cbranch_execz .LBB79_15
; %bb.12:
	ds_load_b32 v11, v15
	s_mov_b32 s6, exec_lo
	s_wait_dscnt 0x0
	v_cmpx_eq_u32_e64 v10, v11
	s_cbranch_execz .LBB79_14
; %bb.13:
	v_subrev_nc_u32_e32 v11, 32, v12
	ds_load_b64 v[16:17], v11
	s_wait_dscnt 0x0
	v_pk_add_f32 v[6:7], v[6:7], v[16:17]
.LBB79_14:
	s_or_b32 exec_lo, exec_lo, s6
.LBB79_15:
	s_delay_alu instid0(SALU_CYCLE_1)
	s_or_b32 exec_lo, exec_lo, s5
	v_cmp_lt_u32_e64 s4, 7, v0
	v_subrev_nc_u32_e32 v16, 32, v1
	s_barrier_signal -1
	s_barrier_wait -1
	ds_store_b64 v12, v[6:7]
	s_wait_dscnt 0x0
	s_barrier_signal -1
	s_barrier_wait -1
	s_and_saveexec_b32 s6, s4
	s_cbranch_execz .LBB79_19
; %bb.16:
	ds_load_b32 v11, v16
	s_mov_b32 s7, exec_lo
	s_wait_dscnt 0x0
	v_cmpx_eq_u32_e64 v10, v11
	s_cbranch_execz .LBB79_18
; %bb.17:
	v_subrev_nc_u32_e32 v11, 64, v12
	ds_load_b64 v[18:19], v11
	s_wait_dscnt 0x0
	v_pk_add_f32 v[6:7], v[6:7], v[18:19]
.LBB79_18:
	s_or_b32 exec_lo, exec_lo, s7
.LBB79_19:
	s_delay_alu instid0(SALU_CYCLE_1)
	s_or_b32 exec_lo, exec_lo, s6
	v_cmp_lt_u32_e64 s5, 15, v0
	v_subrev_nc_u32_e32 v17, 64, v1
	s_barrier_signal -1
	s_barrier_wait -1
	ds_store_b64 v12, v[6:7]
	s_wait_dscnt 0x0
	s_barrier_signal -1
	s_barrier_wait -1
	s_and_saveexec_b32 s7, s5
	s_cbranch_execz .LBB79_23
; %bb.20:
	ds_load_b32 v11, v17
	s_mov_b32 s9, exec_lo
	s_wait_dscnt 0x0
	v_cmpx_eq_u32_e64 v10, v11
	s_cbranch_execz .LBB79_22
; %bb.21:
	v_add_nc_u32_e32 v11, 0xffffff80, v12
	ds_load_b64 v[18:19], v11
	s_wait_dscnt 0x0
	v_pk_add_f32 v[6:7], v[6:7], v[18:19]
.LBB79_22:
	s_or_b32 exec_lo, exec_lo, s9
.LBB79_23:
	s_delay_alu instid0(SALU_CYCLE_1)
	s_or_b32 exec_lo, exec_lo, s7
	v_cmp_lt_u32_e64 s6, 31, v0
	v_add_nc_u32_e32 v18, 0xffffff80, v1
	s_barrier_signal -1
	s_barrier_wait -1
	ds_store_b64 v12, v[6:7]
	s_wait_dscnt 0x0
	s_barrier_signal -1
	s_barrier_wait -1
	s_and_saveexec_b32 s9, s6
	s_cbranch_execz .LBB79_27
; %bb.24:
	ds_load_b32 v11, v18
	s_mov_b32 s10, exec_lo
	s_wait_dscnt 0x0
	v_cmpx_eq_u32_e64 v10, v11
	s_cbranch_execz .LBB79_26
; %bb.25:
	v_add_nc_u32_e32 v11, 0xffffff00, v12
	ds_load_b64 v[20:21], v11
	s_wait_dscnt 0x0
	v_pk_add_f32 v[6:7], v[6:7], v[20:21]
.LBB79_26:
	s_or_b32 exec_lo, exec_lo, s10
.LBB79_27:
	s_delay_alu instid0(SALU_CYCLE_1)
	s_or_b32 exec_lo, exec_lo, s9
	v_cmp_lt_u32_e64 s7, 63, v0
	v_add_nc_u32_e32 v19, 0xffffff00, v1
	s_barrier_signal -1
	s_barrier_wait -1
	ds_store_b64 v12, v[6:7]
	s_wait_dscnt 0x0
	s_barrier_signal -1
	s_barrier_wait -1
	s_and_saveexec_b32 s10, s7
	s_cbranch_execz .LBB79_31
; %bb.28:
	ds_load_b32 v11, v19
	s_mov_b32 s11, exec_lo
	s_wait_dscnt 0x0
	v_cmpx_eq_u32_e64 v10, v11
	s_cbranch_execz .LBB79_30
; %bb.29:
	v_add_nc_u32_e32 v11, 0xfffffe00, v12
	ds_load_b64 v[20:21], v11
	s_wait_dscnt 0x0
	v_pk_add_f32 v[6:7], v[6:7], v[20:21]
.LBB79_30:
	s_or_b32 exec_lo, exec_lo, s11
.LBB79_31:
	s_delay_alu instid0(SALU_CYCLE_1)
	s_or_b32 exec_lo, exec_lo, s10
	s_load_b64 s[22:23], s[0:1], 0x30
	s_wait_xcnt 0x0
	v_cmp_lt_u32_e64 s0, 0x7f, v0
	v_add_nc_u32_e32 v20, 0xfffffe00, v1
	s_barrier_signal -1
	s_barrier_wait -1
	ds_store_b64 v12, v[6:7]
	s_wait_dscnt 0x0
	s_barrier_signal -1
	s_barrier_wait -1
	s_and_saveexec_b32 s9, s0
	s_cbranch_execz .LBB79_35
; %bb.32:
	ds_load_b32 v11, v20
	s_mov_b32 s10, exec_lo
	s_wait_dscnt 0x0
	v_cmpx_eq_u32_e64 v10, v11
	s_cbranch_execz .LBB79_34
; %bb.33:
	v_add_nc_u32_e32 v11, 0xfffffc00, v12
	ds_load_b64 v[22:23], v11
	s_wait_dscnt 0x0
	v_pk_add_f32 v[6:7], v[6:7], v[22:23]
.LBB79_34:
	s_or_b32 exec_lo, exec_lo, s10
.LBB79_35:
	s_delay_alu instid0(SALU_CYCLE_1)
	s_or_b32 exec_lo, exec_lo, s9
	v_cmp_gt_u32_e64 s1, 0xff, v0
	s_barrier_signal -1
	s_barrier_wait -1
	ds_store_b64 v12, v[6:7]
	s_wait_dscnt 0x0
	s_barrier_signal -1
	s_barrier_wait -1
	s_and_saveexec_b32 s11, s1
	s_cbranch_execz .LBB79_38
; %bb.36:
	ds_load_b32 v11, v1 offset:4
	v_cmp_lt_i32_e64 s10, -1, v10
	s_wait_dscnt 0x0
	v_cmp_ne_u32_e64 s9, v10, v11
	s_and_b32 s9, s10, s9
	s_delay_alu instid0(SALU_CYCLE_1)
	s_and_b32 exec_lo, exec_lo, s9
	s_cbranch_execz .LBB79_38
; %bb.37:
	v_dual_mov_b32 v11, 0 :: v_dual_mul_f32 v21, v7, -v3
	v_mul_f32_e32 v7, v2, v7
	s_wait_kmcnt 0x0
	s_delay_alu instid0(VALU_DEP_2) | instskip(NEXT) | instid1(VALU_DEP_2)
	v_lshl_add_u64 v[10:11], v[10:11], 3, s[22:23]
	v_dual_fmac_f32 v21, v2, v6 :: v_dual_fmac_f32 v7, v3, v6
	global_atomic_add_f32 v[10:11], v21, off scope:SCOPE_DEV
	s_wait_xcnt 0x0
	global_atomic_add_f32 v[10:11], v7, off offset:4 scope:SCOPE_DEV
.LBB79_38:
	s_wait_xcnt 0x0
	s_or_b32 exec_lo, exec_lo, s11
	v_add_nc_u64_e32 v[4:5], 0x100, v[4:5]
	v_mov_b32_e32 v6, -1
	s_delay_alu instid0(VALU_DEP_2)
	v_cmp_gt_i64_e64 s9, s[20:21], v[4:5]
	v_mov_b64_e32 v[4:5], 0
	s_and_saveexec_b32 s10, s9
	s_cbranch_execz .LBB79_40
; %bb.39:
	s_wait_kmcnt 0x0
	v_add_nc_u64_e32 v[4:5], s[14:15], v[8:9]
	global_load_b32 v6, v[4:5], off offset:1024 th:TH_LOAD_NT
	s_wait_xcnt 0x0
	v_add_nc_u64_e32 v[4:5], s[16:17], v[8:9]
	s_wait_loadcnt 0x0
	v_subrev_nc_u32_e32 v21, s24, v6
	v_add_nc_u64_e32 v[6:7], s[12:13], v[8:9]
	v_bfrev_b32_e32 v8, 1
	global_load_b32 v9, v[4:5], off offset:1024 th:TH_LOAD_NT
	global_load_b64 v[10:11], v21, s[18:19] scale_offset
	global_load_b32 v24, v[6:7], off offset:1024 th:TH_LOAD_NT
	s_wait_loadcnt 0x2
	s_wait_xcnt 0x2
	v_dual_mov_b32 v5, 0 :: v_dual_mov_b32 v4, v9
	s_wait_loadcnt 0x1
	v_pk_mul_f32 v[22:23], v[10:11], v[8:9] op_sel:[1,0]
	s_wait_loadcnt 0x0
	v_subrev_nc_u32_e32 v6, s24, v24
	s_delay_alu instid0(VALU_DEP_2)
	v_pk_fma_f32 v[4:5], v[10:11], v[4:5], v[22:23] op_sel_hi:[0,1,1]
.LBB79_40:
	s_or_b32 exec_lo, exec_lo, s10
	s_and_saveexec_b32 s9, s8
	s_cbranch_execz .LBB79_55
; %bb.41:
	v_mov_b32_e32 v7, 0
	s_mov_b32 s11, exec_lo
	ds_load_b32 v7, v7 offset:3068
	s_wait_dscnt 0x0
	v_readfirstlane_b32 s10, v7
	v_cmpx_ne_u32_e64 v6, v7
	s_wait_kmcnt 0x0
	s_xor_b32 s12, exec_lo, s11
	s_cbranch_execz .LBB79_52
; %bb.42:
	s_cmp_lt_i32 s10, 0
	s_cbranch_scc1 .LBB79_52
; %bb.43:
	v_mov_b32_e32 v7, 0
	s_mov_b32 s8, exec_lo
	s_brev_b32 s13, 1
	ds_load_b64 v[8:9], v7 offset:2040
	s_wait_dscnt 0x0
	v_mul_f32_e64 v7, v9, -v3
	s_delay_alu instid0(VALU_DEP_1)
	v_fmac_f32_e32 v7, v2, v8
.LBB79_44:                              ; =>This Inner Loop Header: Depth=1
	s_ctz_i32_b32 s11, s8
	s_delay_alu instid0(VALU_DEP_1) | instid1(SALU_CYCLE_1)
	v_readlane_b32 s14, v7, s11
	s_lshl_b32 s11, 1, s11
	s_delay_alu instid0(SALU_CYCLE_1) | instskip(NEXT) | instid1(SALU_CYCLE_1)
	s_and_not1_b32 s8, s8, s11
	s_cmp_lg_u32 s8, 0
	s_add_f32 s13, s13, s14
	s_cbranch_scc1 .LBB79_44
; %bb.45:
	v_mbcnt_lo_u32_b32 v7, exec_lo, 0
	s_mov_b32 s11, 0
	s_delay_alu instid0(SALU_CYCLE_1) | instskip(NEXT) | instid1(SALU_CYCLE_1)
	s_lshl_b64 s[10:11], s[10:11], 3
	s_add_nc_u64 s[10:11], s[22:23], s[10:11]
	s_delay_alu instid0(VALU_DEP_1) | instskip(SKIP_1) | instid1(SALU_CYCLE_1)
	v_cmp_eq_u32_e64 s8, 0, v7
	s_and_saveexec_b32 s14, s8
	s_xor_b32 s8, exec_lo, s14
	s_cbranch_execz .LBB79_47
; %bb.46:
	v_dual_mov_b32 v7, 0 :: v_dual_mov_b32 v10, s13
	global_atomic_add_f32 v7, v10, s[10:11] scope:SCOPE_DEV
.LBB79_47:
	s_wait_xcnt 0x0
	s_or_b32 exec_lo, exec_lo, s8
	v_mul_f32_e32 v7, v2, v9
	s_mov_b32 s8, exec_lo
	s_brev_b32 s13, 1
	s_delay_alu instid0(VALU_DEP_1)
	v_fmac_f32_e32 v7, v3, v8
.LBB79_48:                              ; =>This Inner Loop Header: Depth=1
	s_ctz_i32_b32 s14, s8
	s_delay_alu instid0(VALU_DEP_1) | instid1(SALU_CYCLE_1)
	v_readlane_b32 s15, v7, s14
	s_lshl_b32 s14, 1, s14
	s_delay_alu instid0(SALU_CYCLE_1) | instskip(NEXT) | instid1(SALU_CYCLE_1)
	s_and_not1_b32 s8, s8, s14
	s_cmp_lg_u32 s8, 0
	s_add_f32 s13, s13, s15
	s_cbranch_scc1 .LBB79_48
; %bb.49:
	v_mbcnt_lo_u32_b32 v7, exec_lo, 0
	s_delay_alu instid0(VALU_DEP_1) | instskip(SKIP_1) | instid1(SALU_CYCLE_1)
	v_cmp_eq_u32_e64 s8, 0, v7
	s_and_saveexec_b32 s14, s8
	s_xor_b32 s8, exec_lo, s14
	s_cbranch_execz .LBB79_51
; %bb.50:
	v_dual_mov_b32 v7, 0 :: v_dual_mov_b32 v8, s13
	global_atomic_add_f32 v7, v8, s[10:11] offset:4 scope:SCOPE_DEV
.LBB79_51:
	s_wait_xcnt 0x0
	s_or_b32 exec_lo, exec_lo, s8
.LBB79_52:
	s_and_not1_saveexec_b32 s8, s12
	s_cbranch_execz .LBB79_54
; %bb.53:
	v_mov_b32_e32 v7, 0
	ds_load_b64 v[8:9], v7 offset:2040
	s_wait_dscnt 0x0
	v_pk_add_f32 v[4:5], v[4:5], v[8:9]
.LBB79_54:
	s_or_b32 exec_lo, exec_lo, s8
.LBB79_55:
	s_delay_alu instid0(SALU_CYCLE_1)
	s_or_b32 exec_lo, exec_lo, s9
	s_wait_storecnt 0x0
	s_barrier_signal -1
	s_barrier_wait -1
	ds_store_b32 v1, v6
	ds_store_b64 v12, v[4:5]
	s_wait_dscnt 0x0
	s_barrier_signal -1
	s_barrier_wait -1
	s_and_saveexec_b32 s8, vcc_lo
	s_cbranch_execz .LBB79_59
; %bb.56:
	ds_load_b32 v7, v13
	s_mov_b32 s9, exec_lo
	s_wait_dscnt 0x0
	v_cmpx_eq_u32_e64 v6, v7
	s_cbranch_execz .LBB79_58
; %bb.57:
	v_add_nc_u32_e32 v7, -8, v12
	ds_load_b64 v[8:9], v7
	s_wait_dscnt 0x0
	v_pk_add_f32 v[4:5], v[4:5], v[8:9]
.LBB79_58:
	s_or_b32 exec_lo, exec_lo, s9
.LBB79_59:
	s_delay_alu instid0(SALU_CYCLE_1)
	s_or_b32 exec_lo, exec_lo, s8
	s_barrier_signal -1
	s_barrier_wait -1
	ds_store_b64 v12, v[4:5]
	s_wait_dscnt 0x0
	s_barrier_signal -1
	s_barrier_wait -1
	s_and_saveexec_b32 s8, s2
	s_cbranch_execz .LBB79_63
; %bb.60:
	ds_load_b32 v7, v14
	s_mov_b32 s2, exec_lo
	s_wait_dscnt 0x0
	v_cmpx_eq_u32_e64 v6, v7
	s_cbranch_execz .LBB79_62
; %bb.61:
	v_add_nc_u32_e32 v7, -16, v12
	ds_load_b64 v[8:9], v7
	s_wait_dscnt 0x0
	v_pk_add_f32 v[4:5], v[4:5], v[8:9]
.LBB79_62:
	s_or_b32 exec_lo, exec_lo, s2
.LBB79_63:
	s_delay_alu instid0(SALU_CYCLE_1)
	s_or_b32 exec_lo, exec_lo, s8
	s_barrier_signal -1
	s_barrier_wait -1
	ds_store_b64 v12, v[4:5]
	s_wait_dscnt 0x0
	s_barrier_signal -1
	s_barrier_wait -1
	s_and_saveexec_b32 s2, s3
	s_cbranch_execz .LBB79_67
; %bb.64:
	ds_load_b32 v7, v15
	s_mov_b32 s3, exec_lo
	s_wait_dscnt 0x0
	v_cmpx_eq_u32_e64 v6, v7
	s_cbranch_execz .LBB79_66
; %bb.65:
	v_subrev_nc_u32_e32 v7, 32, v12
	ds_load_b64 v[8:9], v7
	s_wait_dscnt 0x0
	v_pk_add_f32 v[4:5], v[4:5], v[8:9]
.LBB79_66:
	s_or_b32 exec_lo, exec_lo, s3
.LBB79_67:
	s_delay_alu instid0(SALU_CYCLE_1)
	s_or_b32 exec_lo, exec_lo, s2
	s_barrier_signal -1
	s_barrier_wait -1
	ds_store_b64 v12, v[4:5]
	s_wait_dscnt 0x0
	s_barrier_signal -1
	s_barrier_wait -1
	s_and_saveexec_b32 s2, s4
	s_cbranch_execz .LBB79_71
; %bb.68:
	ds_load_b32 v7, v16
	s_mov_b32 s3, exec_lo
	s_wait_dscnt 0x0
	v_cmpx_eq_u32_e64 v6, v7
	s_cbranch_execz .LBB79_70
; %bb.69:
	v_subrev_nc_u32_e32 v7, 64, v12
	ds_load_b64 v[8:9], v7
	s_wait_dscnt 0x0
	v_pk_add_f32 v[4:5], v[4:5], v[8:9]
.LBB79_70:
	s_or_b32 exec_lo, exec_lo, s3
.LBB79_71:
	s_delay_alu instid0(SALU_CYCLE_1)
	s_or_b32 exec_lo, exec_lo, s2
	s_barrier_signal -1
	s_barrier_wait -1
	ds_store_b64 v12, v[4:5]
	s_wait_dscnt 0x0
	s_barrier_signal -1
	s_barrier_wait -1
	s_and_saveexec_b32 s2, s5
	s_cbranch_execz .LBB79_75
; %bb.72:
	ds_load_b32 v7, v17
	s_mov_b32 s3, exec_lo
	s_wait_dscnt 0x0
	v_cmpx_eq_u32_e64 v6, v7
	s_cbranch_execz .LBB79_74
; %bb.73:
	v_add_nc_u32_e32 v7, 0xffffff80, v12
	ds_load_b64 v[8:9], v7
	s_wait_dscnt 0x0
	v_pk_add_f32 v[4:5], v[4:5], v[8:9]
.LBB79_74:
	s_or_b32 exec_lo, exec_lo, s3
.LBB79_75:
	s_delay_alu instid0(SALU_CYCLE_1)
	s_or_b32 exec_lo, exec_lo, s2
	s_barrier_signal -1
	s_barrier_wait -1
	ds_store_b64 v12, v[4:5]
	s_wait_dscnt 0x0
	s_barrier_signal -1
	s_barrier_wait -1
	s_and_saveexec_b32 s2, s6
	s_cbranch_execz .LBB79_79
; %bb.76:
	ds_load_b32 v7, v18
	s_mov_b32 s3, exec_lo
	s_wait_dscnt 0x0
	v_cmpx_eq_u32_e64 v6, v7
	s_cbranch_execz .LBB79_78
; %bb.77:
	v_add_nc_u32_e32 v7, 0xffffff00, v12
	ds_load_b64 v[8:9], v7
	s_wait_dscnt 0x0
	v_pk_add_f32 v[4:5], v[4:5], v[8:9]
.LBB79_78:
	s_or_b32 exec_lo, exec_lo, s3
.LBB79_79:
	;; [unrolled: 24-line block ×4, first 2 shown]
	s_delay_alu instid0(SALU_CYCLE_1)
	s_or_b32 exec_lo, exec_lo, s2
	s_barrier_signal -1
	s_barrier_wait -1
	ds_store_b64 v12, v[4:5]
	s_wait_dscnt 0x0
	s_barrier_signal -1
	s_barrier_wait -1
	s_and_saveexec_b32 s2, s1
	s_cbranch_execz .LBB79_90
; %bb.88:
	ds_load_b32 v1, v1 offset:4
	v_cmp_lt_i32_e64 s0, -1, v6
	s_wait_dscnt 0x0
	v_cmp_ne_u32_e32 vcc_lo, v6, v1
	s_and_b32 s0, s0, vcc_lo
	s_delay_alu instid0(SALU_CYCLE_1)
	s_and_b32 exec_lo, exec_lo, s0
	s_cbranch_execz .LBB79_90
; %bb.89:
	v_dual_mov_b32 v7, 0 :: v_dual_mul_f32 v1, v5, -v3
	v_mul_f32_e32 v10, v2, v5
	s_wait_kmcnt 0x0
	s_delay_alu instid0(VALU_DEP_2) | instskip(NEXT) | instid1(VALU_DEP_2)
	v_lshl_add_u64 v[8:9], v[6:7], 3, s[22:23]
	v_dual_fmac_f32 v1, v2, v4 :: v_dual_fmac_f32 v10, v3, v4
	global_atomic_add_f32 v[8:9], v1, off scope:SCOPE_DEV
	s_wait_xcnt 0x0
	global_atomic_add_f32 v[8:9], v10, off offset:4 scope:SCOPE_DEV
.LBB79_90:
	s_wait_xcnt 0x0
	s_or_b32 exec_lo, exec_lo, s2
	v_cmp_eq_u32_e32 vcc_lo, 0xff, v0
	v_cmp_lt_i32_e64 s0, -1, v6
	s_and_b32 s0, vcc_lo, s0
	s_delay_alu instid0(SALU_CYCLE_1)
	s_and_b32 exec_lo, exec_lo, s0
	s_cbranch_execz .LBB79_92
; %bb.91:
	v_dual_mov_b32 v7, 0 :: v_dual_mul_f32 v8, v5, -v3
	v_mul_f32_e32 v5, v2, v5
	s_wait_kmcnt 0x0
	s_delay_alu instid0(VALU_DEP_2) | instskip(NEXT) | instid1(VALU_DEP_2)
	v_lshl_add_u64 v[0:1], v[6:7], 3, s[22:23]
	v_dual_fmac_f32 v8, v2, v4 :: v_dual_fmac_f32 v5, v3, v4
	global_atomic_add_f32 v[0:1], v8, off scope:SCOPE_DEV
	s_wait_xcnt 0x0
	global_atomic_add_f32 v[0:1], v5, off offset:4 scope:SCOPE_DEV
.LBB79_92:
	s_endpgm
	.section	.rodata,"a",@progbits
	.p2align	6, 0x0
	.amdhsa_kernel _ZN9rocsparseL19coomvn_atomic_loopsILj256ELj2Eif21rocsparse_complex_numIfES2_S2_EEvlNS_24const_host_device_scalarIT5_EEPKT1_S8_PKT2_PKT3_PT4_21rocsparse_index_base_b
		.amdhsa_group_segment_fixed_size 3072
		.amdhsa_private_segment_fixed_size 0
		.amdhsa_kernarg_size 64
		.amdhsa_user_sgpr_count 2
		.amdhsa_user_sgpr_dispatch_ptr 0
		.amdhsa_user_sgpr_queue_ptr 0
		.amdhsa_user_sgpr_kernarg_segment_ptr 1
		.amdhsa_user_sgpr_dispatch_id 0
		.amdhsa_user_sgpr_kernarg_preload_length 0
		.amdhsa_user_sgpr_kernarg_preload_offset 0
		.amdhsa_user_sgpr_private_segment_size 0
		.amdhsa_wavefront_size32 1
		.amdhsa_uses_dynamic_stack 0
		.amdhsa_enable_private_segment 0
		.amdhsa_system_sgpr_workgroup_id_x 1
		.amdhsa_system_sgpr_workgroup_id_y 0
		.amdhsa_system_sgpr_workgroup_id_z 0
		.amdhsa_system_sgpr_workgroup_info 0
		.amdhsa_system_vgpr_workitem_id 0
		.amdhsa_next_free_vgpr 25
		.amdhsa_next_free_sgpr 26
		.amdhsa_named_barrier_count 0
		.amdhsa_reserve_vcc 1
		.amdhsa_float_round_mode_32 0
		.amdhsa_float_round_mode_16_64 0
		.amdhsa_float_denorm_mode_32 3
		.amdhsa_float_denorm_mode_16_64 3
		.amdhsa_fp16_overflow 0
		.amdhsa_memory_ordered 1
		.amdhsa_forward_progress 1
		.amdhsa_inst_pref_size 25
		.amdhsa_round_robin_scheduling 0
		.amdhsa_exception_fp_ieee_invalid_op 0
		.amdhsa_exception_fp_denorm_src 0
		.amdhsa_exception_fp_ieee_div_zero 0
		.amdhsa_exception_fp_ieee_overflow 0
		.amdhsa_exception_fp_ieee_underflow 0
		.amdhsa_exception_fp_ieee_inexact 0
		.amdhsa_exception_int_div_zero 0
	.end_amdhsa_kernel
	.section	.text._ZN9rocsparseL19coomvn_atomic_loopsILj256ELj2Eif21rocsparse_complex_numIfES2_S2_EEvlNS_24const_host_device_scalarIT5_EEPKT1_S8_PKT2_PKT3_PT4_21rocsparse_index_base_b,"axG",@progbits,_ZN9rocsparseL19coomvn_atomic_loopsILj256ELj2Eif21rocsparse_complex_numIfES2_S2_EEvlNS_24const_host_device_scalarIT5_EEPKT1_S8_PKT2_PKT3_PT4_21rocsparse_index_base_b,comdat
.Lfunc_end79:
	.size	_ZN9rocsparseL19coomvn_atomic_loopsILj256ELj2Eif21rocsparse_complex_numIfES2_S2_EEvlNS_24const_host_device_scalarIT5_EEPKT1_S8_PKT2_PKT3_PT4_21rocsparse_index_base_b, .Lfunc_end79-_ZN9rocsparseL19coomvn_atomic_loopsILj256ELj2Eif21rocsparse_complex_numIfES2_S2_EEvlNS_24const_host_device_scalarIT5_EEPKT1_S8_PKT2_PKT3_PT4_21rocsparse_index_base_b
                                        ; -- End function
	.set _ZN9rocsparseL19coomvn_atomic_loopsILj256ELj2Eif21rocsparse_complex_numIfES2_S2_EEvlNS_24const_host_device_scalarIT5_EEPKT1_S8_PKT2_PKT3_PT4_21rocsparse_index_base_b.num_vgpr, 25
	.set _ZN9rocsparseL19coomvn_atomic_loopsILj256ELj2Eif21rocsparse_complex_numIfES2_S2_EEvlNS_24const_host_device_scalarIT5_EEPKT1_S8_PKT2_PKT3_PT4_21rocsparse_index_base_b.num_agpr, 0
	.set _ZN9rocsparseL19coomvn_atomic_loopsILj256ELj2Eif21rocsparse_complex_numIfES2_S2_EEvlNS_24const_host_device_scalarIT5_EEPKT1_S8_PKT2_PKT3_PT4_21rocsparse_index_base_b.numbered_sgpr, 26
	.set _ZN9rocsparseL19coomvn_atomic_loopsILj256ELj2Eif21rocsparse_complex_numIfES2_S2_EEvlNS_24const_host_device_scalarIT5_EEPKT1_S8_PKT2_PKT3_PT4_21rocsparse_index_base_b.num_named_barrier, 0
	.set _ZN9rocsparseL19coomvn_atomic_loopsILj256ELj2Eif21rocsparse_complex_numIfES2_S2_EEvlNS_24const_host_device_scalarIT5_EEPKT1_S8_PKT2_PKT3_PT4_21rocsparse_index_base_b.private_seg_size, 0
	.set _ZN9rocsparseL19coomvn_atomic_loopsILj256ELj2Eif21rocsparse_complex_numIfES2_S2_EEvlNS_24const_host_device_scalarIT5_EEPKT1_S8_PKT2_PKT3_PT4_21rocsparse_index_base_b.uses_vcc, 1
	.set _ZN9rocsparseL19coomvn_atomic_loopsILj256ELj2Eif21rocsparse_complex_numIfES2_S2_EEvlNS_24const_host_device_scalarIT5_EEPKT1_S8_PKT2_PKT3_PT4_21rocsparse_index_base_b.uses_flat_scratch, 0
	.set _ZN9rocsparseL19coomvn_atomic_loopsILj256ELj2Eif21rocsparse_complex_numIfES2_S2_EEvlNS_24const_host_device_scalarIT5_EEPKT1_S8_PKT2_PKT3_PT4_21rocsparse_index_base_b.has_dyn_sized_stack, 0
	.set _ZN9rocsparseL19coomvn_atomic_loopsILj256ELj2Eif21rocsparse_complex_numIfES2_S2_EEvlNS_24const_host_device_scalarIT5_EEPKT1_S8_PKT2_PKT3_PT4_21rocsparse_index_base_b.has_recursion, 0
	.set _ZN9rocsparseL19coomvn_atomic_loopsILj256ELj2Eif21rocsparse_complex_numIfES2_S2_EEvlNS_24const_host_device_scalarIT5_EEPKT1_S8_PKT2_PKT3_PT4_21rocsparse_index_base_b.has_indirect_call, 0
	.section	.AMDGPU.csdata,"",@progbits
; Kernel info:
; codeLenInByte = 3080
; TotalNumSgprs: 28
; NumVgprs: 25
; ScratchSize: 0
; MemoryBound: 0
; FloatMode: 240
; IeeeMode: 1
; LDSByteSize: 3072 bytes/workgroup (compile time only)
; SGPRBlocks: 0
; VGPRBlocks: 1
; NumSGPRsForWavesPerEU: 28
; NumVGPRsForWavesPerEU: 25
; NamedBarCnt: 0
; Occupancy: 16
; WaveLimiterHint : 1
; COMPUTE_PGM_RSRC2:SCRATCH_EN: 0
; COMPUTE_PGM_RSRC2:USER_SGPR: 2
; COMPUTE_PGM_RSRC2:TRAP_HANDLER: 0
; COMPUTE_PGM_RSRC2:TGID_X_EN: 1
; COMPUTE_PGM_RSRC2:TGID_Y_EN: 0
; COMPUTE_PGM_RSRC2:TGID_Z_EN: 0
; COMPUTE_PGM_RSRC2:TIDIG_COMP_CNT: 0
	.section	.text._ZN9rocsparseL22coomvn_segmented_loopsILj256Elf21rocsparse_complex_numIfES2_S2_EEvlT0_NS_24const_host_device_scalarIT4_EEPKS3_S8_PKT1_PKT2_PT3_PS3_PS5_21rocsparse_index_base_b,"axG",@progbits,_ZN9rocsparseL22coomvn_segmented_loopsILj256Elf21rocsparse_complex_numIfES2_S2_EEvlT0_NS_24const_host_device_scalarIT4_EEPKS3_S8_PKT1_PKT2_PT3_PS3_PS5_21rocsparse_index_base_b,comdat
	.globl	_ZN9rocsparseL22coomvn_segmented_loopsILj256Elf21rocsparse_complex_numIfES2_S2_EEvlT0_NS_24const_host_device_scalarIT4_EEPKS3_S8_PKT1_PKT2_PT3_PS3_PS5_21rocsparse_index_base_b ; -- Begin function _ZN9rocsparseL22coomvn_segmented_loopsILj256Elf21rocsparse_complex_numIfES2_S2_EEvlT0_NS_24const_host_device_scalarIT4_EEPKS3_S8_PKT1_PKT2_PT3_PS3_PS5_21rocsparse_index_base_b
	.p2align	8
	.type	_ZN9rocsparseL22coomvn_segmented_loopsILj256Elf21rocsparse_complex_numIfES2_S2_EEvlT0_NS_24const_host_device_scalarIT4_EEPKS3_S8_PKT1_PKT2_PT3_PS3_PS5_21rocsparse_index_base_b,@function
_ZN9rocsparseL22coomvn_segmented_loopsILj256Elf21rocsparse_complex_numIfES2_S2_EEvlT0_NS_24const_host_device_scalarIT4_EEPKS3_S8_PKT1_PKT2_PT3_PS3_PS5_21rocsparse_index_base_b: ; @_ZN9rocsparseL22coomvn_segmented_loopsILj256Elf21rocsparse_complex_numIfES2_S2_EEvlT0_NS_24const_host_device_scalarIT4_EEPKS3_S8_PKT1_PKT2_PT3_PS3_PS5_21rocsparse_index_base_b
; %bb.0:
	s_clause 0x1
	s_load_b64 s[28:29], s[0:1], 0x50
	s_load_b64 s[2:3], s[0:1], 0x10
	v_mov_b32_e32 v1, 0
	s_add_nc_u64 s[4:5], s[0:1], 16
	s_mov_b32 s15, 0
	s_wait_kmcnt 0x0
	s_bitcmp1_b32 s29, 0
	s_cselect_b32 s3, s5, s3
	s_cselect_b32 s2, s4, s2
	flat_load_b64 v[2:3], v1, s[2:3]
	s_wait_loadcnt_dscnt 0x0
	v_cmp_neq_f32_e32 vcc_lo, 0, v2
	v_cmp_neq_f32_e64 s2, 0, v3
	s_or_b32 s2, vcc_lo, s2
	s_delay_alu instid0(SALU_CYCLE_1)
	s_and_saveexec_b32 s3, s2
	s_cbranch_execz .LBB80_87
; %bb.1:
	s_load_b128 s[24:27], s[0:1], 0x0
	s_bfe_u32 s2, ttmp6, 0x4000c
	s_load_b256 s[16:23], s[0:1], 0x18
	s_add_co_i32 s2, s2, 1
	s_and_b32 s3, ttmp6, 15
	s_mul_i32 s2, ttmp9, s2
	s_getreg_b32 s4, hwreg(HW_REG_IB_STS2, 6, 4)
	s_add_co_i32 s3, s3, s2
	s_cmp_eq_u32 s4, 0
	v_mov_b64_e32 v[4:5], -1
	s_cselect_b32 s14, ttmp9, s3
	v_mov_b64_e32 v[6:7], 0
	s_wait_kmcnt 0x0
	s_mul_u64 s[34:35], s[14:15], s[26:27]
	s_delay_alu instid0(SALU_CYCLE_1) | instskip(NEXT) | instid1(SALU_CYCLE_1)
	s_lshl_b64 s[2:3], s[34:35], 8
	v_dual_mov_b32 v11, s3 :: v_dual_bitop2_b32 v10, s2, v0 bitop3:0x54
	s_mov_b32 s2, exec_lo
	s_delay_alu instid0(VALU_DEP_1)
	v_cmpx_gt_i64_e64 s[24:25], v[10:11]
	s_cbranch_execz .LBB80_3
; %bb.2:
	v_lshlrev_b64_e32 v[4:5], 3, v[10:11]
	s_mov_b32 s29, 0
	s_delay_alu instid0(VALU_DEP_1)
	v_add_nc_u64_e32 v[6:7], s[16:17], v[4:5]
	v_add_nc_u64_e32 v[4:5], s[18:19], v[4:5]
	global_load_b64 v[8:9], v[6:7], off th:TH_LOAD_NT
	global_load_b64 v[12:13], v[4:5], off th:TH_LOAD_NT
	s_wait_loadcnt 0x1
	s_wait_xcnt 0x0
	v_sub_nc_u64_e64 v[4:5], v[8:9], s[28:29]
	s_wait_loadcnt 0x0
	v_lshl_add_u64 v[6:7], v[12:13], 3, s[22:23]
	s_ashr_i32 s29, s28, 31
	v_lshl_add_u64 v[8:9], v[10:11], 2, s[20:21]
	s_lshl_b64 s[4:5], s[28:29], 3
	v_bfrev_b32_e32 v12, 1
	v_sub_nc_u64_e64 v[6:7], v[6:7], s[4:5]
	global_load_b32 v13, v[8:9], off th:TH_LOAD_NT
	global_load_b64 v[14:15], v[6:7], off
	s_wait_loadcnt 0x1
	s_wait_xcnt 0x0
	v_dual_mov_b32 v7, 0 :: v_dual_mov_b32 v6, v13
	s_wait_loadcnt 0x0
	v_pk_mul_f32 v[8:9], v[14:15], v[12:13] op_sel:[1,0]
	s_delay_alu instid0(VALU_DEP_1)
	v_pk_fma_f32 v[6:7], v[14:15], v[6:7], v[8:9] op_sel_hi:[0,1,1]
.LBB80_3:
	s_or_b32 exec_lo, exec_lo, s2
	v_lshlrev_b32_e32 v1, 3, v0
	v_cmp_eq_u32_e64 s2, 0, v0
	v_cmp_ne_u32_e64 s3, 0, v0
	s_delay_alu instid0(VALU_DEP_3)
	v_or_b32_e32 v24, 0x800, v1
	v_add_nc_u32_e32 v25, -8, v1
	ds_store_2addr_stride64_b64 v1, v[4:5], v[6:7] offset1:4
	s_wait_dscnt 0x0
	s_barrier_signal -1
	s_barrier_wait -1
	s_and_saveexec_b32 s4, s3
	s_cbranch_execz .LBB80_7
; %bb.4:
	ds_load_b64 v[8:9], v25
	s_mov_b32 s5, exec_lo
	s_wait_dscnt 0x0
	v_cmpx_eq_u64_e64 v[4:5], v[8:9]
	s_cbranch_execz .LBB80_6
; %bb.5:
	v_add_nc_u32_e32 v8, -8, v24
	ds_load_b64 v[8:9], v8
	s_wait_dscnt 0x0
	v_pk_add_f32 v[6:7], v[6:7], v[8:9]
.LBB80_6:
	s_or_b32 exec_lo, exec_lo, s5
.LBB80_7:
	s_delay_alu instid0(SALU_CYCLE_1)
	s_or_b32 exec_lo, exec_lo, s4
	v_cmp_lt_u32_e64 s4, 1, v0
	v_add_nc_u32_e32 v26, -16, v1
	s_barrier_signal -1
	s_barrier_wait -1
	ds_store_b64 v24, v[6:7]
	s_wait_dscnt 0x0
	s_barrier_signal -1
	s_barrier_wait -1
	s_and_saveexec_b32 s5, s4
	s_cbranch_execz .LBB80_11
; %bb.8:
	ds_load_b64 v[8:9], v26
	s_mov_b32 s6, exec_lo
	s_wait_dscnt 0x0
	v_cmpx_eq_u64_e64 v[4:5], v[8:9]
	s_cbranch_execz .LBB80_10
; %bb.9:
	v_add_nc_u32_e32 v8, -16, v24
	ds_load_b64 v[8:9], v8
	s_wait_dscnt 0x0
	v_pk_add_f32 v[6:7], v[6:7], v[8:9]
.LBB80_10:
	s_or_b32 exec_lo, exec_lo, s6
.LBB80_11:
	s_delay_alu instid0(SALU_CYCLE_1)
	s_or_b32 exec_lo, exec_lo, s5
	v_cmp_lt_u32_e64 s5, 3, v0
	v_subrev_nc_u32_e32 v27, 32, v1
	s_barrier_signal -1
	s_barrier_wait -1
	ds_store_b64 v24, v[6:7]
	s_wait_dscnt 0x0
	s_barrier_signal -1
	s_barrier_wait -1
	s_and_saveexec_b32 s6, s5
	s_cbranch_execz .LBB80_15
; %bb.12:
	ds_load_b64 v[8:9], v27
	s_mov_b32 s7, exec_lo
	s_wait_dscnt 0x0
	v_cmpx_eq_u64_e64 v[4:5], v[8:9]
	s_cbranch_execz .LBB80_14
; %bb.13:
	v_subrev_nc_u32_e32 v8, 32, v24
	ds_load_b64 v[8:9], v8
	s_wait_dscnt 0x0
	v_pk_add_f32 v[6:7], v[6:7], v[8:9]
.LBB80_14:
	s_or_b32 exec_lo, exec_lo, s7
.LBB80_15:
	s_delay_alu instid0(SALU_CYCLE_1)
	s_or_b32 exec_lo, exec_lo, s6
	v_cmp_lt_u32_e64 s6, 7, v0
	v_subrev_nc_u32_e32 v28, 64, v1
	s_barrier_signal -1
	s_barrier_wait -1
	ds_store_b64 v24, v[6:7]
	s_wait_dscnt 0x0
	s_barrier_signal -1
	s_barrier_wait -1
	s_and_saveexec_b32 s7, s6
	s_cbranch_execz .LBB80_19
; %bb.16:
	ds_load_b64 v[8:9], v28
	s_mov_b32 s8, exec_lo
	s_wait_dscnt 0x0
	v_cmpx_eq_u64_e64 v[4:5], v[8:9]
	s_cbranch_execz .LBB80_18
; %bb.17:
	v_subrev_nc_u32_e32 v8, 64, v24
	ds_load_b64 v[8:9], v8
	s_wait_dscnt 0x0
	v_pk_add_f32 v[6:7], v[6:7], v[8:9]
.LBB80_18:
	s_or_b32 exec_lo, exec_lo, s8
.LBB80_19:
	s_delay_alu instid0(SALU_CYCLE_1)
	s_or_b32 exec_lo, exec_lo, s7
	v_cmp_lt_u32_e64 s7, 15, v0
	v_add_nc_u32_e32 v29, 0xffffff80, v1
	s_barrier_signal -1
	s_barrier_wait -1
	ds_store_b64 v24, v[6:7]
	s_wait_dscnt 0x0
	s_barrier_signal -1
	s_barrier_wait -1
	s_and_saveexec_b32 s8, s7
	s_cbranch_execz .LBB80_23
; %bb.20:
	ds_load_b64 v[8:9], v29
	s_mov_b32 s9, exec_lo
	s_wait_dscnt 0x0
	v_cmpx_eq_u64_e64 v[4:5], v[8:9]
	s_cbranch_execz .LBB80_22
; %bb.21:
	v_add_nc_u32_e32 v8, 0xffffff80, v24
	ds_load_b64 v[8:9], v8
	s_wait_dscnt 0x0
	v_pk_add_f32 v[6:7], v[6:7], v[8:9]
.LBB80_22:
	s_or_b32 exec_lo, exec_lo, s9
.LBB80_23:
	s_delay_alu instid0(SALU_CYCLE_1)
	s_or_b32 exec_lo, exec_lo, s8
	v_cmp_lt_u32_e64 s8, 31, v0
	v_add_nc_u32_e32 v30, 0xffffff00, v1
	s_barrier_signal -1
	s_barrier_wait -1
	ds_store_b64 v24, v[6:7]
	s_wait_dscnt 0x0
	s_barrier_signal -1
	s_barrier_wait -1
	s_and_saveexec_b32 s9, s8
	s_cbranch_execz .LBB80_27
; %bb.24:
	ds_load_b64 v[8:9], v30
	s_mov_b32 s10, exec_lo
	s_wait_dscnt 0x0
	v_cmpx_eq_u64_e64 v[4:5], v[8:9]
	s_cbranch_execz .LBB80_26
; %bb.25:
	v_add_nc_u32_e32 v8, 0xffffff00, v24
	ds_load_b64 v[8:9], v8
	s_wait_dscnt 0x0
	v_pk_add_f32 v[6:7], v[6:7], v[8:9]
.LBB80_26:
	s_or_b32 exec_lo, exec_lo, s10
.LBB80_27:
	;; [unrolled: 26-line block ×4, first 2 shown]
	s_delay_alu instid0(SALU_CYCLE_1)
	s_or_b32 exec_lo, exec_lo, s11
	s_load_b64 s[30:31], s[0:1], 0x38
	v_cmp_gt_u32_e64 s11, 0xff, v0
	s_barrier_signal -1
	s_barrier_wait -1
	ds_store_b64 v24, v[6:7]
	s_wait_dscnt 0x0
	s_barrier_signal -1
	s_barrier_wait -1
	s_and_saveexec_b32 s13, s11
	s_cbranch_execz .LBB80_38
; %bb.36:
	ds_load_b64 v[8:9], v1 offset:8
	v_cmp_lt_i64_e64 s12, -1, v[4:5]
	s_wait_dscnt 0x0
	v_cmp_ne_u64_e32 vcc_lo, v[4:5], v[8:9]
	s_and_b32 s12, s12, vcc_lo
	s_delay_alu instid0(SALU_CYCLE_1)
	s_and_b32 exec_lo, exec_lo, s12
	s_cbranch_execz .LBB80_38
; %bb.37:
	s_wait_kmcnt 0x0
	v_lshl_add_u64 v[8:9], v[4:5], 3, s[30:31]
	v_xor_b32_e32 v14, 0x80000000, v3
	v_mov_b32_e32 v15, v2
	global_load_b64 v[12:13], v[8:9], off
	s_wait_loadcnt 0x0
	v_pk_fma_f32 v[12:13], v[2:3], v[6:7], v[12:13] op_sel_hi:[1,0,1]
	s_delay_alu instid0(VALU_DEP_1)
	v_pk_fma_f32 v[12:13], v[14:15], v[6:7], v[12:13] op_sel:[0,1,0]
	global_store_b64 v[8:9], v[12:13], off
.LBB80_38:
	s_wait_xcnt 0x0
	s_or_b32 exec_lo, exec_lo, s13
	v_cmp_lt_i64_e64 s12, s[26:27], 2
	v_xor_b32_e32 v8, 0x80000000, v3
	s_and_b32 vcc_lo, exec_lo, s12
	s_cbranch_vccnz .LBB80_85
; %bb.39:
	s_lshl_b64 s[36:37], s[34:35], 11
	v_dual_mov_b32 v13, 0 :: v_dual_add_nc_u32 v38, 0xffffff00, v24
	v_lshl_or_b32 v4, v0, 3, s36
	v_dual_mov_b32 v5, s37 :: v_dual_lshlrev_b32 v12, 2, v0
	s_lshl_b64 s[34:35], s[34:35], 10
	v_add_nc_u64_e32 v[10:11], 0x100, v[10:11]
	s_add_nc_u64 s[20:21], s[20:21], s[34:35]
	s_delay_alu instid0(VALU_DEP_2)
	v_add_nc_u64_e32 v[4:5], 0x800, v[4:5]
	v_add_nc_u64_e32 v[6:7], s[20:21], v[12:13]
	s_ashr_i32 s13, s28, 31
	s_mov_b32 s12, s28
	v_dual_add_nc_u32 v33, -8, v24 :: v_dual_add_nc_u32 v34, -16, v24
	v_subrev_nc_u32_e32 v35, 32, v24
	s_delay_alu instid0(VALU_DEP_4) | instskip(NEXT) | instid1(VALU_DEP_4)
	v_add_nc_u64_e32 v[14:15], s[18:19], v[4:5]
	v_add_nc_u64_e32 v[16:17], 0x400, v[6:7]
	;; [unrolled: 1-line block ×3, first 2 shown]
	v_subrev_nc_u32_e32 v36, 64, v24
	v_add_nc_u32_e32 v37, 0xffffff80, v24
	v_add_nc_u32_e32 v39, 0xfffffe00, v24
	v_dual_mov_b32 v9, v2 :: v_dual_add_nc_u32 v40, 0xfffffc00, v24
	v_bfrev_b32_e32 v20, 1
	s_lshl_b64 s[12:13], s[12:13], 3
	s_add_nc_u64 s[26:27], s[26:27], -1
	s_mov_b32 s29, 0
	s_sub_nc_u64 s[16:17], s[22:23], s[12:13]
	s_mov_b64 s[18:19], 0
	s_branch .LBB80_41
.LBB80_40:                              ;   in Loop: Header=BB80_41 Depth=1
	s_wait_xcnt 0x0
	s_or_b32 exec_lo, exec_lo, s13
	s_add_nc_u64 s[18:19], s[18:19], 1
	v_add_nc_u64_e32 v[14:15], 0x800, v[14:15]
	v_cmp_le_u64_e64 s12, s[26:27], s[18:19]
	v_add_nc_u64_e32 v[16:17], 0x400, v[16:17]
	v_add_nc_u64_e32 v[18:19], 0x800, v[18:19]
	;; [unrolled: 1-line block ×3, first 2 shown]
	s_and_b32 vcc_lo, exec_lo, s12
	s_cbranch_vccnz .LBB80_85
.LBB80_41:                              ; =>This Inner Loop Header: Depth=1
	v_mov_b64_e32 v[4:5], -1
	v_mov_b64_e32 v[6:7], 0
	s_mov_b32 s12, exec_lo
	s_delay_alu instid0(VALU_DEP_3)
	v_cmpx_gt_i64_e64 s[24:25], v[10:11]
	s_cbranch_execz .LBB80_43
; %bb.42:                               ;   in Loop: Header=BB80_41 Depth=1
	global_load_b64 v[4:5], v[14:15], off th:TH_LOAD_NT
	s_wait_loadcnt 0x0
	v_lshl_add_u64 v[4:5], v[4:5], 3, s[16:17]
	global_load_b32 v21, v[16:17], off th:TH_LOAD_NT
	global_load_b64 v[6:7], v[4:5], off
	global_load_b64 v[22:23], v[18:19], off th:TH_LOAD_NT
	s_wait_loadcnt 0x2
	v_mov_b32_e32 v12, v21
	s_wait_loadcnt 0x1
	v_pk_mul_f32 v[42:43], v[6:7], v[20:21] op_sel:[1,0]
	s_wait_loadcnt 0x0
	s_wait_xcnt 0x1
	v_sub_nc_u64_e64 v[4:5], v[22:23], s[28:29]
	s_delay_alu instid0(VALU_DEP_2)
	v_pk_fma_f32 v[6:7], v[6:7], v[12:13], v[42:43] op_sel_hi:[0,1,1]
.LBB80_43:                              ;   in Loop: Header=BB80_41 Depth=1
	s_wait_xcnt 0x0
	s_or_b32 exec_lo, exec_lo, s12
	s_and_saveexec_b32 s12, s2
	s_cbranch_execz .LBB80_50
; %bb.44:                               ;   in Loop: Header=BB80_41 Depth=1
	ds_load_b64 v[22:23], v13 offset:2040
	s_mov_b32 s13, exec_lo
	s_wait_dscnt 0x0
	v_cmpx_ne_u64_e64 v[4:5], v[22:23]
	s_xor_b32 s13, exec_lo, s13
	s_cbranch_execz .LBB80_47
; %bb.45:                               ;   in Loop: Header=BB80_41 Depth=1
	v_cmp_gt_i64_e32 vcc_lo, 0, v[22:23]
	s_cbranch_vccnz .LBB80_47
; %bb.46:                               ;   in Loop: Header=BB80_41 Depth=1
	v_lshlrev_b64_e32 v[22:23], 3, v[22:23]
	ds_load_b64 v[44:45], v13 offset:4088
	s_wait_kmcnt 0x0
	v_add_nc_u64_e32 v[22:23], s[30:31], v[22:23]
	global_load_b64 v[42:43], v[22:23], off
	s_wait_loadcnt_dscnt 0x0
	v_pk_fma_f32 v[42:43], v[2:3], v[44:45], v[42:43] op_sel_hi:[1,0,1]
	s_delay_alu instid0(VALU_DEP_1)
	v_pk_fma_f32 v[42:43], v[8:9], v[44:45], v[42:43] op_sel:[0,1,0]
	global_store_b64 v[22:23], v[42:43], off
.LBB80_47:                              ;   in Loop: Header=BB80_41 Depth=1
	s_wait_xcnt 0x0
	s_and_not1_saveexec_b32 s13, s13
	s_cbranch_execz .LBB80_49
; %bb.48:                               ;   in Loop: Header=BB80_41 Depth=1
	ds_load_b64 v[22:23], v13 offset:4088
	s_wait_dscnt 0x0
	v_pk_add_f32 v[6:7], v[6:7], v[22:23]
.LBB80_49:                              ;   in Loop: Header=BB80_41 Depth=1
	s_or_b32 exec_lo, exec_lo, s13
.LBB80_50:                              ;   in Loop: Header=BB80_41 Depth=1
	s_delay_alu instid0(SALU_CYCLE_1)
	s_or_b32 exec_lo, exec_lo, s12
	s_wait_storecnt 0x0
	s_barrier_signal -1
	s_barrier_wait -1
	ds_store_b64 v1, v[4:5]
	ds_store_b64 v24, v[6:7]
	s_wait_dscnt 0x0
	s_barrier_signal -1
	s_barrier_wait -1
	s_and_saveexec_b32 s12, s3
	s_cbranch_execz .LBB80_54
; %bb.51:                               ;   in Loop: Header=BB80_41 Depth=1
	ds_load_b64 v[22:23], v25
	s_mov_b32 s13, exec_lo
	s_wait_dscnt 0x0
	v_cmpx_eq_u64_e64 v[4:5], v[22:23]
	s_cbranch_execz .LBB80_53
; %bb.52:                               ;   in Loop: Header=BB80_41 Depth=1
	ds_load_b64 v[22:23], v33
	s_wait_dscnt 0x0
	v_pk_add_f32 v[6:7], v[6:7], v[22:23]
.LBB80_53:                              ;   in Loop: Header=BB80_41 Depth=1
	s_or_b32 exec_lo, exec_lo, s13
.LBB80_54:                              ;   in Loop: Header=BB80_41 Depth=1
	s_delay_alu instid0(SALU_CYCLE_1)
	s_or_b32 exec_lo, exec_lo, s12
	s_barrier_signal -1
	s_barrier_wait -1
	ds_store_b64 v24, v[6:7]
	s_wait_dscnt 0x0
	s_barrier_signal -1
	s_barrier_wait -1
	s_and_saveexec_b32 s12, s4
	s_cbranch_execz .LBB80_58
; %bb.55:                               ;   in Loop: Header=BB80_41 Depth=1
	ds_load_b64 v[22:23], v26
	s_mov_b32 s13, exec_lo
	s_wait_dscnt 0x0
	v_cmpx_eq_u64_e64 v[4:5], v[22:23]
	s_cbranch_execz .LBB80_57
; %bb.56:                               ;   in Loop: Header=BB80_41 Depth=1
	ds_load_b64 v[22:23], v34
	s_wait_dscnt 0x0
	v_pk_add_f32 v[6:7], v[6:7], v[22:23]
.LBB80_57:                              ;   in Loop: Header=BB80_41 Depth=1
	s_or_b32 exec_lo, exec_lo, s13
.LBB80_58:                              ;   in Loop: Header=BB80_41 Depth=1
	s_delay_alu instid0(SALU_CYCLE_1)
	s_or_b32 exec_lo, exec_lo, s12
	s_barrier_signal -1
	s_barrier_wait -1
	;; [unrolled: 23-line block ×8, first 2 shown]
	ds_store_b64 v24, v[6:7]
	s_wait_dscnt 0x0
	s_barrier_signal -1
	s_barrier_wait -1
	s_and_saveexec_b32 s13, s11
	s_cbranch_execz .LBB80_40
; %bb.83:                               ;   in Loop: Header=BB80_41 Depth=1
	ds_load_b64 v[22:23], v1 offset:8
	v_cmp_lt_i64_e64 s12, -1, v[4:5]
	s_wait_dscnt 0x0
	v_cmp_ne_u64_e32 vcc_lo, v[4:5], v[22:23]
	s_and_b32 s12, s12, vcc_lo
	s_delay_alu instid0(SALU_CYCLE_1)
	s_and_b32 exec_lo, exec_lo, s12
	s_cbranch_execz .LBB80_40
; %bb.84:                               ;   in Loop: Header=BB80_41 Depth=1
	s_wait_kmcnt 0x0
	v_lshl_add_u64 v[22:23], v[4:5], 3, s[30:31]
	global_load_b64 v[42:43], v[22:23], off
	s_wait_loadcnt 0x0
	v_pk_fma_f32 v[42:43], v[2:3], v[6:7], v[42:43] op_sel_hi:[1,0,1]
	s_delay_alu instid0(VALU_DEP_1)
	v_pk_fma_f32 v[42:43], v[8:9], v[6:7], v[42:43] op_sel:[0,1,0]
	global_store_b64 v[22:23], v[42:43], off
	s_branch .LBB80_40
.LBB80_85:
	s_load_b128 s[4:7], s[0:1], 0x40
	v_cmp_eq_u32_e32 vcc_lo, 0xff, v0
	s_and_b32 exec_lo, exec_lo, vcc_lo
	s_cbranch_execz .LBB80_87
; %bb.86:
	v_mov_b32_e32 v9, v2
	s_wait_xcnt 0x0
	s_lshl_b64 s[0:1], s[14:15], 3
	s_wait_kmcnt 0x0
	s_add_nc_u64 s[2:3], s[4:5], s[0:1]
	s_add_nc_u64 s[0:1], s[6:7], s[0:1]
	v_pk_mul_f32 v[0:1], v[6:7], v[8:9] op_sel:[1,0]
	v_mov_b32_e32 v8, 0
	s_delay_alu instid0(VALU_DEP_2)
	v_pk_fma_f32 v[0:1], v[2:3], v[6:7], v[0:1] op_sel_hi:[1,0,1]
	s_clause 0x1
	global_store_b64 v8, v[4:5], s[2:3] th:TH_STORE_NT
	global_store_b64 v8, v[0:1], s[0:1] th:TH_STORE_NT
.LBB80_87:
	s_endpgm
	.section	.rodata,"a",@progbits
	.p2align	6, 0x0
	.amdhsa_kernel _ZN9rocsparseL22coomvn_segmented_loopsILj256Elf21rocsparse_complex_numIfES2_S2_EEvlT0_NS_24const_host_device_scalarIT4_EEPKS3_S8_PKT1_PKT2_PT3_PS3_PS5_21rocsparse_index_base_b
		.amdhsa_group_segment_fixed_size 4096
		.amdhsa_private_segment_fixed_size 0
		.amdhsa_kernarg_size 88
		.amdhsa_user_sgpr_count 2
		.amdhsa_user_sgpr_dispatch_ptr 0
		.amdhsa_user_sgpr_queue_ptr 0
		.amdhsa_user_sgpr_kernarg_segment_ptr 1
		.amdhsa_user_sgpr_dispatch_id 0
		.amdhsa_user_sgpr_kernarg_preload_length 0
		.amdhsa_user_sgpr_kernarg_preload_offset 0
		.amdhsa_user_sgpr_private_segment_size 0
		.amdhsa_wavefront_size32 1
		.amdhsa_uses_dynamic_stack 0
		.amdhsa_enable_private_segment 0
		.amdhsa_system_sgpr_workgroup_id_x 1
		.amdhsa_system_sgpr_workgroup_id_y 0
		.amdhsa_system_sgpr_workgroup_id_z 0
		.amdhsa_system_sgpr_workgroup_info 0
		.amdhsa_system_vgpr_workitem_id 0
		.amdhsa_next_free_vgpr 46
		.amdhsa_next_free_sgpr 38
		.amdhsa_named_barrier_count 0
		.amdhsa_reserve_vcc 1
		.amdhsa_float_round_mode_32 0
		.amdhsa_float_round_mode_16_64 0
		.amdhsa_float_denorm_mode_32 3
		.amdhsa_float_denorm_mode_16_64 3
		.amdhsa_fp16_overflow 0
		.amdhsa_memory_ordered 1
		.amdhsa_forward_progress 1
		.amdhsa_inst_pref_size 24
		.amdhsa_round_robin_scheduling 0
		.amdhsa_exception_fp_ieee_invalid_op 0
		.amdhsa_exception_fp_denorm_src 0
		.amdhsa_exception_fp_ieee_div_zero 0
		.amdhsa_exception_fp_ieee_overflow 0
		.amdhsa_exception_fp_ieee_underflow 0
		.amdhsa_exception_fp_ieee_inexact 0
		.amdhsa_exception_int_div_zero 0
	.end_amdhsa_kernel
	.section	.text._ZN9rocsparseL22coomvn_segmented_loopsILj256Elf21rocsparse_complex_numIfES2_S2_EEvlT0_NS_24const_host_device_scalarIT4_EEPKS3_S8_PKT1_PKT2_PT3_PS3_PS5_21rocsparse_index_base_b,"axG",@progbits,_ZN9rocsparseL22coomvn_segmented_loopsILj256Elf21rocsparse_complex_numIfES2_S2_EEvlT0_NS_24const_host_device_scalarIT4_EEPKS3_S8_PKT1_PKT2_PT3_PS3_PS5_21rocsparse_index_base_b,comdat
.Lfunc_end80:
	.size	_ZN9rocsparseL22coomvn_segmented_loopsILj256Elf21rocsparse_complex_numIfES2_S2_EEvlT0_NS_24const_host_device_scalarIT4_EEPKS3_S8_PKT1_PKT2_PT3_PS3_PS5_21rocsparse_index_base_b, .Lfunc_end80-_ZN9rocsparseL22coomvn_segmented_loopsILj256Elf21rocsparse_complex_numIfES2_S2_EEvlT0_NS_24const_host_device_scalarIT4_EEPKS3_S8_PKT1_PKT2_PT3_PS3_PS5_21rocsparse_index_base_b
                                        ; -- End function
	.set _ZN9rocsparseL22coomvn_segmented_loopsILj256Elf21rocsparse_complex_numIfES2_S2_EEvlT0_NS_24const_host_device_scalarIT4_EEPKS3_S8_PKT1_PKT2_PT3_PS3_PS5_21rocsparse_index_base_b.num_vgpr, 46
	.set _ZN9rocsparseL22coomvn_segmented_loopsILj256Elf21rocsparse_complex_numIfES2_S2_EEvlT0_NS_24const_host_device_scalarIT4_EEPKS3_S8_PKT1_PKT2_PT3_PS3_PS5_21rocsparse_index_base_b.num_agpr, 0
	.set _ZN9rocsparseL22coomvn_segmented_loopsILj256Elf21rocsparse_complex_numIfES2_S2_EEvlT0_NS_24const_host_device_scalarIT4_EEPKS3_S8_PKT1_PKT2_PT3_PS3_PS5_21rocsparse_index_base_b.numbered_sgpr, 38
	.set _ZN9rocsparseL22coomvn_segmented_loopsILj256Elf21rocsparse_complex_numIfES2_S2_EEvlT0_NS_24const_host_device_scalarIT4_EEPKS3_S8_PKT1_PKT2_PT3_PS3_PS5_21rocsparse_index_base_b.num_named_barrier, 0
	.set _ZN9rocsparseL22coomvn_segmented_loopsILj256Elf21rocsparse_complex_numIfES2_S2_EEvlT0_NS_24const_host_device_scalarIT4_EEPKS3_S8_PKT1_PKT2_PT3_PS3_PS5_21rocsparse_index_base_b.private_seg_size, 0
	.set _ZN9rocsparseL22coomvn_segmented_loopsILj256Elf21rocsparse_complex_numIfES2_S2_EEvlT0_NS_24const_host_device_scalarIT4_EEPKS3_S8_PKT1_PKT2_PT3_PS3_PS5_21rocsparse_index_base_b.uses_vcc, 1
	.set _ZN9rocsparseL22coomvn_segmented_loopsILj256Elf21rocsparse_complex_numIfES2_S2_EEvlT0_NS_24const_host_device_scalarIT4_EEPKS3_S8_PKT1_PKT2_PT3_PS3_PS5_21rocsparse_index_base_b.uses_flat_scratch, 0
	.set _ZN9rocsparseL22coomvn_segmented_loopsILj256Elf21rocsparse_complex_numIfES2_S2_EEvlT0_NS_24const_host_device_scalarIT4_EEPKS3_S8_PKT1_PKT2_PT3_PS3_PS5_21rocsparse_index_base_b.has_dyn_sized_stack, 0
	.set _ZN9rocsparseL22coomvn_segmented_loopsILj256Elf21rocsparse_complex_numIfES2_S2_EEvlT0_NS_24const_host_device_scalarIT4_EEPKS3_S8_PKT1_PKT2_PT3_PS3_PS5_21rocsparse_index_base_b.has_recursion, 0
	.set _ZN9rocsparseL22coomvn_segmented_loopsILj256Elf21rocsparse_complex_numIfES2_S2_EEvlT0_NS_24const_host_device_scalarIT4_EEPKS3_S8_PKT1_PKT2_PT3_PS3_PS5_21rocsparse_index_base_b.has_indirect_call, 0
	.section	.AMDGPU.csdata,"",@progbits
; Kernel info:
; codeLenInByte = 3072
; TotalNumSgprs: 40
; NumVgprs: 46
; ScratchSize: 0
; MemoryBound: 0
; FloatMode: 240
; IeeeMode: 1
; LDSByteSize: 4096 bytes/workgroup (compile time only)
; SGPRBlocks: 0
; VGPRBlocks: 2
; NumSGPRsForWavesPerEU: 40
; NumVGPRsForWavesPerEU: 46
; NamedBarCnt: 0
; Occupancy: 16
; WaveLimiterHint : 1
; COMPUTE_PGM_RSRC2:SCRATCH_EN: 0
; COMPUTE_PGM_RSRC2:USER_SGPR: 2
; COMPUTE_PGM_RSRC2:TRAP_HANDLER: 0
; COMPUTE_PGM_RSRC2:TGID_X_EN: 1
; COMPUTE_PGM_RSRC2:TGID_Y_EN: 0
; COMPUTE_PGM_RSRC2:TGID_Z_EN: 0
; COMPUTE_PGM_RSRC2:TIDIG_COMP_CNT: 0
	.section	.text._ZN9rocsparseL13coomvt_kernelILj1024Elf21rocsparse_complex_numIfES2_S2_EEv20rocsparse_operation_lNS_24const_host_device_scalarIT4_EEPKT0_S9_PKT1_PKT2_PT3_21rocsparse_index_base_b,"axG",@progbits,_ZN9rocsparseL13coomvt_kernelILj1024Elf21rocsparse_complex_numIfES2_S2_EEv20rocsparse_operation_lNS_24const_host_device_scalarIT4_EEPKT0_S9_PKT1_PKT2_PT3_21rocsparse_index_base_b,comdat
	.globl	_ZN9rocsparseL13coomvt_kernelILj1024Elf21rocsparse_complex_numIfES2_S2_EEv20rocsparse_operation_lNS_24const_host_device_scalarIT4_EEPKT0_S9_PKT1_PKT2_PT3_21rocsparse_index_base_b ; -- Begin function _ZN9rocsparseL13coomvt_kernelILj1024Elf21rocsparse_complex_numIfES2_S2_EEv20rocsparse_operation_lNS_24const_host_device_scalarIT4_EEPKT0_S9_PKT1_PKT2_PT3_21rocsparse_index_base_b
	.p2align	8
	.type	_ZN9rocsparseL13coomvt_kernelILj1024Elf21rocsparse_complex_numIfES2_S2_EEv20rocsparse_operation_lNS_24const_host_device_scalarIT4_EEPKT0_S9_PKT1_PKT2_PT3_21rocsparse_index_base_b,@function
_ZN9rocsparseL13coomvt_kernelILj1024Elf21rocsparse_complex_numIfES2_S2_EEv20rocsparse_operation_lNS_24const_host_device_scalarIT4_EEPKT0_S9_PKT1_PKT2_PT3_21rocsparse_index_base_b: ; @_ZN9rocsparseL13coomvt_kernelILj1024Elf21rocsparse_complex_numIfES2_S2_EEv20rocsparse_operation_lNS_24const_host_device_scalarIT4_EEPKT0_S9_PKT1_PKT2_PT3_21rocsparse_index_base_b
; %bb.0:
	s_clause 0x1
	s_load_b64 s[8:9], s[0:1], 0x40
	s_load_b128 s[4:7], s[0:1], 0x8
	v_mov_b32_e32 v1, 0
	s_add_nc_u64 s[2:3], s[0:1], 16
	s_wait_kmcnt 0x0
	s_bitcmp1_b32 s9, 0
	s_cselect_b32 s3, s3, s7
	s_cselect_b32 s2, s2, s6
	flat_load_b64 v[2:3], v1, s[2:3]
	s_wait_loadcnt_dscnt 0x0
	v_cmp_neq_f32_e32 vcc_lo, 0, v2
	v_cmp_neq_f32_e64 s2, 0, v3
	s_or_b32 s2, vcc_lo, s2
	s_delay_alu instid0(SALU_CYCLE_1)
	s_and_saveexec_b32 s3, s2
	s_cbranch_execz .LBB81_3
; %bb.1:
	s_load_b32 s2, s[0:1], 0x54
	s_bfe_u32 s3, ttmp6, 0x4000c
	s_and_b32 s6, ttmp6, 15
	s_add_co_i32 s3, s3, 1
	s_getreg_b32 s7, hwreg(HW_REG_IB_STS2, 6, 4)
	s_mul_i32 s3, ttmp9, s3
	s_delay_alu instid0(SALU_CYCLE_1) | instskip(SKIP_4) | instid1(SALU_CYCLE_1)
	s_add_co_i32 s6, s6, s3
	s_wait_kmcnt 0x0
	s_and_b32 s2, s2, 0xffff
	s_cmp_eq_u32 s7, 0
	s_cselect_b32 s3, ttmp9, s6
	v_mad_u32 v0, s3, s2, v0
	s_delay_alu instid0(VALU_DEP_1)
	v_cmp_gt_i64_e32 vcc_lo, s[4:5], v[0:1]
	s_and_b32 exec_lo, exec_lo, vcc_lo
	s_cbranch_execz .LBB81_3
; %bb.2:
	s_load_b256 s[12:19], s[0:1], 0x18
	v_lshlrev_b64_e32 v[4:5], 3, v[0:1]
	s_mov_b32 s9, 0
	s_wait_xcnt 0x0
	s_load_b64 s[0:1], s[0:1], 0x38
	s_wait_kmcnt 0x0
	s_delay_alu instid0(VALU_DEP_1)
	v_add_nc_u64_e32 v[6:7], s[12:13], v[4:5]
	v_lshl_add_u64 v[0:1], v[0:1], 2, s[16:17]
	v_add_nc_u64_e32 v[4:5], s[14:15], v[4:5]
	global_load_b32 v10, v[0:1], off
	global_load_b64 v[6:7], v[6:7], off
	s_wait_loadcnt 0x0
	v_sub_nc_u64_e64 v[6:7], v[6:7], s[8:9]
	s_delay_alu instid0(VALU_DEP_1) | instskip(SKIP_4) | instid1(VALU_DEP_1)
	v_lshl_add_u64 v[0:1], v[6:7], 3, s[18:19]
	global_load_b64 v[6:7], v[4:5], off
	global_load_b64 v[8:9], v[0:1], off
	s_wait_xcnt 0x1
	v_dual_mul_f32 v4, 0, v2 :: v_dual_mul_f32 v5, 0x80000000, v3
	v_dual_fmac_f32 v4, v3, v10 :: v_dual_fmac_f32 v5, v2, v10
	s_wait_loadcnt 0x1
	s_wait_xcnt 0x0
	v_sub_nc_u64_e64 v[0:1], v[6:7], s[8:9]
	s_wait_loadcnt 0x0
	v_mul_f32_e64 v2, v9, -v4
	s_delay_alu instid0(VALU_DEP_1) | instskip(NEXT) | instid1(VALU_DEP_3)
	v_dual_mul_f32 v3, v5, v9 :: v_dual_fmac_f32 v2, v5, v8
	v_lshl_add_u64 v[0:1], v[0:1], 3, s[0:1]
	s_delay_alu instid0(VALU_DEP_2)
	v_fmac_f32_e32 v3, v4, v8
	global_atomic_add_f32 v[0:1], v2, off scope:SCOPE_DEV
	s_wait_xcnt 0x0
	global_atomic_add_f32 v[0:1], v3, off offset:4 scope:SCOPE_DEV
.LBB81_3:
	s_endpgm
	.section	.rodata,"a",@progbits
	.p2align	6, 0x0
	.amdhsa_kernel _ZN9rocsparseL13coomvt_kernelILj1024Elf21rocsparse_complex_numIfES2_S2_EEv20rocsparse_operation_lNS_24const_host_device_scalarIT4_EEPKT0_S9_PKT1_PKT2_PT3_21rocsparse_index_base_b
		.amdhsa_group_segment_fixed_size 0
		.amdhsa_private_segment_fixed_size 0
		.amdhsa_kernarg_size 328
		.amdhsa_user_sgpr_count 2
		.amdhsa_user_sgpr_dispatch_ptr 0
		.amdhsa_user_sgpr_queue_ptr 0
		.amdhsa_user_sgpr_kernarg_segment_ptr 1
		.amdhsa_user_sgpr_dispatch_id 0
		.amdhsa_user_sgpr_kernarg_preload_length 0
		.amdhsa_user_sgpr_kernarg_preload_offset 0
		.amdhsa_user_sgpr_private_segment_size 0
		.amdhsa_wavefront_size32 1
		.amdhsa_uses_dynamic_stack 0
		.amdhsa_enable_private_segment 0
		.amdhsa_system_sgpr_workgroup_id_x 1
		.amdhsa_system_sgpr_workgroup_id_y 0
		.amdhsa_system_sgpr_workgroup_id_z 0
		.amdhsa_system_sgpr_workgroup_info 0
		.amdhsa_system_vgpr_workitem_id 0
		.amdhsa_next_free_vgpr 11
		.amdhsa_next_free_sgpr 20
		.amdhsa_named_barrier_count 0
		.amdhsa_reserve_vcc 1
		.amdhsa_float_round_mode_32 0
		.amdhsa_float_round_mode_16_64 0
		.amdhsa_float_denorm_mode_32 3
		.amdhsa_float_denorm_mode_16_64 3
		.amdhsa_fp16_overflow 0
		.amdhsa_memory_ordered 1
		.amdhsa_forward_progress 1
		.amdhsa_inst_pref_size 4
		.amdhsa_round_robin_scheduling 0
		.amdhsa_exception_fp_ieee_invalid_op 0
		.amdhsa_exception_fp_denorm_src 0
		.amdhsa_exception_fp_ieee_div_zero 0
		.amdhsa_exception_fp_ieee_overflow 0
		.amdhsa_exception_fp_ieee_underflow 0
		.amdhsa_exception_fp_ieee_inexact 0
		.amdhsa_exception_int_div_zero 0
	.end_amdhsa_kernel
	.section	.text._ZN9rocsparseL13coomvt_kernelILj1024Elf21rocsparse_complex_numIfES2_S2_EEv20rocsparse_operation_lNS_24const_host_device_scalarIT4_EEPKT0_S9_PKT1_PKT2_PT3_21rocsparse_index_base_b,"axG",@progbits,_ZN9rocsparseL13coomvt_kernelILj1024Elf21rocsparse_complex_numIfES2_S2_EEv20rocsparse_operation_lNS_24const_host_device_scalarIT4_EEPKT0_S9_PKT1_PKT2_PT3_21rocsparse_index_base_b,comdat
.Lfunc_end81:
	.size	_ZN9rocsparseL13coomvt_kernelILj1024Elf21rocsparse_complex_numIfES2_S2_EEv20rocsparse_operation_lNS_24const_host_device_scalarIT4_EEPKT0_S9_PKT1_PKT2_PT3_21rocsparse_index_base_b, .Lfunc_end81-_ZN9rocsparseL13coomvt_kernelILj1024Elf21rocsparse_complex_numIfES2_S2_EEv20rocsparse_operation_lNS_24const_host_device_scalarIT4_EEPKT0_S9_PKT1_PKT2_PT3_21rocsparse_index_base_b
                                        ; -- End function
	.set _ZN9rocsparseL13coomvt_kernelILj1024Elf21rocsparse_complex_numIfES2_S2_EEv20rocsparse_operation_lNS_24const_host_device_scalarIT4_EEPKT0_S9_PKT1_PKT2_PT3_21rocsparse_index_base_b.num_vgpr, 11
	.set _ZN9rocsparseL13coomvt_kernelILj1024Elf21rocsparse_complex_numIfES2_S2_EEv20rocsparse_operation_lNS_24const_host_device_scalarIT4_EEPKT0_S9_PKT1_PKT2_PT3_21rocsparse_index_base_b.num_agpr, 0
	.set _ZN9rocsparseL13coomvt_kernelILj1024Elf21rocsparse_complex_numIfES2_S2_EEv20rocsparse_operation_lNS_24const_host_device_scalarIT4_EEPKT0_S9_PKT1_PKT2_PT3_21rocsparse_index_base_b.numbered_sgpr, 20
	.set _ZN9rocsparseL13coomvt_kernelILj1024Elf21rocsparse_complex_numIfES2_S2_EEv20rocsparse_operation_lNS_24const_host_device_scalarIT4_EEPKT0_S9_PKT1_PKT2_PT3_21rocsparse_index_base_b.num_named_barrier, 0
	.set _ZN9rocsparseL13coomvt_kernelILj1024Elf21rocsparse_complex_numIfES2_S2_EEv20rocsparse_operation_lNS_24const_host_device_scalarIT4_EEPKT0_S9_PKT1_PKT2_PT3_21rocsparse_index_base_b.private_seg_size, 0
	.set _ZN9rocsparseL13coomvt_kernelILj1024Elf21rocsparse_complex_numIfES2_S2_EEv20rocsparse_operation_lNS_24const_host_device_scalarIT4_EEPKT0_S9_PKT1_PKT2_PT3_21rocsparse_index_base_b.uses_vcc, 1
	.set _ZN9rocsparseL13coomvt_kernelILj1024Elf21rocsparse_complex_numIfES2_S2_EEv20rocsparse_operation_lNS_24const_host_device_scalarIT4_EEPKT0_S9_PKT1_PKT2_PT3_21rocsparse_index_base_b.uses_flat_scratch, 0
	.set _ZN9rocsparseL13coomvt_kernelILj1024Elf21rocsparse_complex_numIfES2_S2_EEv20rocsparse_operation_lNS_24const_host_device_scalarIT4_EEPKT0_S9_PKT1_PKT2_PT3_21rocsparse_index_base_b.has_dyn_sized_stack, 0
	.set _ZN9rocsparseL13coomvt_kernelILj1024Elf21rocsparse_complex_numIfES2_S2_EEv20rocsparse_operation_lNS_24const_host_device_scalarIT4_EEPKT0_S9_PKT1_PKT2_PT3_21rocsparse_index_base_b.has_recursion, 0
	.set _ZN9rocsparseL13coomvt_kernelILj1024Elf21rocsparse_complex_numIfES2_S2_EEv20rocsparse_operation_lNS_24const_host_device_scalarIT4_EEPKT0_S9_PKT1_PKT2_PT3_21rocsparse_index_base_b.has_indirect_call, 0
	.section	.AMDGPU.csdata,"",@progbits
; Kernel info:
; codeLenInByte = 408
; TotalNumSgprs: 22
; NumVgprs: 11
; ScratchSize: 0
; MemoryBound: 0
; FloatMode: 240
; IeeeMode: 1
; LDSByteSize: 0 bytes/workgroup (compile time only)
; SGPRBlocks: 0
; VGPRBlocks: 0
; NumSGPRsForWavesPerEU: 22
; NumVGPRsForWavesPerEU: 11
; NamedBarCnt: 0
; Occupancy: 16
; WaveLimiterHint : 1
; COMPUTE_PGM_RSRC2:SCRATCH_EN: 0
; COMPUTE_PGM_RSRC2:USER_SGPR: 2
; COMPUTE_PGM_RSRC2:TRAP_HANDLER: 0
; COMPUTE_PGM_RSRC2:TGID_X_EN: 1
; COMPUTE_PGM_RSRC2:TGID_Y_EN: 0
; COMPUTE_PGM_RSRC2:TGID_Z_EN: 0
; COMPUTE_PGM_RSRC2:TIDIG_COMP_CNT: 0
	.section	.text._ZN9rocsparseL19coomvn_atomic_loopsILj256ELj1Elf21rocsparse_complex_numIfES2_S2_EEvlNS_24const_host_device_scalarIT5_EEPKT1_S8_PKT2_PKT3_PT4_21rocsparse_index_base_b,"axG",@progbits,_ZN9rocsparseL19coomvn_atomic_loopsILj256ELj1Elf21rocsparse_complex_numIfES2_S2_EEvlNS_24const_host_device_scalarIT5_EEPKT1_S8_PKT2_PKT3_PT4_21rocsparse_index_base_b,comdat
	.globl	_ZN9rocsparseL19coomvn_atomic_loopsILj256ELj1Elf21rocsparse_complex_numIfES2_S2_EEvlNS_24const_host_device_scalarIT5_EEPKT1_S8_PKT2_PKT3_PT4_21rocsparse_index_base_b ; -- Begin function _ZN9rocsparseL19coomvn_atomic_loopsILj256ELj1Elf21rocsparse_complex_numIfES2_S2_EEvlNS_24const_host_device_scalarIT5_EEPKT1_S8_PKT2_PKT3_PT4_21rocsparse_index_base_b
	.p2align	8
	.type	_ZN9rocsparseL19coomvn_atomic_loopsILj256ELj1Elf21rocsparse_complex_numIfES2_S2_EEvlNS_24const_host_device_scalarIT5_EEPKT1_S8_PKT2_PKT3_PT4_21rocsparse_index_base_b,@function
_ZN9rocsparseL19coomvn_atomic_loopsILj256ELj1Elf21rocsparse_complex_numIfES2_S2_EEvlNS_24const_host_device_scalarIT5_EEPKT1_S8_PKT2_PKT3_PT4_21rocsparse_index_base_b: ; @_ZN9rocsparseL19coomvn_atomic_loopsILj256ELj1Elf21rocsparse_complex_numIfES2_S2_EEvlNS_24const_host_device_scalarIT5_EEPKT1_S8_PKT2_PKT3_PT4_21rocsparse_index_base_b
; %bb.0:
	s_clause 0x1
	s_load_b64 s[8:9], s[0:1], 0x38
	s_load_b128 s[4:7], s[0:1], 0x0
	v_mov_b32_e32 v9, 0
	s_or_b64 s[2:3], s[0:1], 8
	s_wait_kmcnt 0x0
	s_bitcmp1_b32 s9, 0
	s_cselect_b32 s3, s3, s7
	s_cselect_b32 s2, s2, s6
	flat_load_b64 v[2:3], v9, s[2:3]
	s_wait_loadcnt_dscnt 0x0
	v_cmp_neq_f32_e32 vcc_lo, 0, v2
	v_cmp_neq_f32_e64 s2, 0, v3
	s_or_b32 s2, vcc_lo, s2
	s_delay_alu instid0(SALU_CYCLE_1)
	s_and_saveexec_b32 s3, s2
	s_cbranch_execz .LBB82_40
; %bb.1:
	s_bfe_u32 s2, ttmp6, 0x4000c
	s_and_b32 s3, ttmp6, 15
	s_add_co_i32 s2, s2, 1
	s_getreg_b32 s6, hwreg(HW_REG_IB_STS2, 6, 4)
	s_mul_i32 s2, ttmp9, s2
	v_mov_b64_e32 v[4:5], -1
	s_add_co_i32 s3, s3, s2
	s_cmp_eq_u32 s6, 0
	v_mov_b64_e32 v[6:7], 0
	s_cselect_b32 s2, ttmp9, s3
	s_delay_alu instid0(SALU_CYCLE_1) | instskip(SKIP_1) | instid1(VALU_DEP_1)
	v_lshl_or_b32 v8, s2, 8, v0
	s_mov_b32 s2, exec_lo
	v_cmpx_gt_i64_e64 s[4:5], v[8:9]
	s_cbranch_execz .LBB82_3
; %bb.2:
	s_load_b256 s[12:19], s[0:1], 0x10
	v_lshlrev_b64_e32 v[4:5], 3, v[8:9]
	s_mov_b32 s9, 0
	v_bfrev_b32_e32 v10, 1
	s_wait_kmcnt 0x0
	s_delay_alu instid0(VALU_DEP_2)
	v_add_nc_u64_e32 v[6:7], s[14:15], v[4:5]
	v_lshl_add_u64 v[8:9], v[8:9], 2, s[16:17]
	v_add_nc_u64_e32 v[4:5], s[12:13], v[4:5]
	global_load_b64 v[6:7], v[6:7], off th:TH_LOAD_NT
	s_wait_loadcnt 0x0
	v_sub_nc_u64_e64 v[6:7], v[6:7], s[8:9]
	s_delay_alu instid0(VALU_DEP_1)
	v_lshl_add_u64 v[6:7], v[6:7], 3, s[18:19]
	global_load_b32 v11, v[8:9], off th:TH_LOAD_NT
	global_load_b64 v[12:13], v[6:7], off
	global_load_b64 v[14:15], v[4:5], off th:TH_LOAD_NT
	s_wait_loadcnt 0x2
	s_wait_xcnt 0x1
	v_dual_mov_b32 v7, 0 :: v_dual_mov_b32 v6, v11
	s_wait_loadcnt 0x1
	v_pk_mul_f32 v[8:9], v[12:13], v[10:11] op_sel:[1,0]
	s_wait_loadcnt 0x0
	v_sub_nc_u64_e64 v[4:5], v[14:15], s[8:9]
	s_delay_alu instid0(VALU_DEP_2)
	v_pk_fma_f32 v[6:7], v[12:13], v[6:7], v[8:9] op_sel_hi:[0,1,1]
.LBB82_3:
	s_or_b32 exec_lo, exec_lo, s2
	v_lshlrev_b32_e32 v1, 3, v0
	s_mov_b32 s2, exec_lo
	s_delay_alu instid0(VALU_DEP_1)
	v_or_b32_e32 v8, 0x800, v1
	ds_store_2addr_stride64_b64 v1, v[4:5], v[6:7] offset1:4
	s_wait_dscnt 0x0
	s_barrier_signal -1
	s_barrier_wait -1
	v_cmpx_ne_u32_e32 0, v0
	s_cbranch_execz .LBB82_7
; %bb.4:
	v_add_nc_u32_e32 v9, -8, v1
	s_mov_b32 s3, exec_lo
	ds_load_b64 v[10:11], v9
	s_wait_dscnt 0x0
	v_cmpx_eq_u64_e64 v[4:5], v[10:11]
	s_cbranch_execz .LBB82_6
; %bb.5:
	v_add_nc_u32_e32 v9, -8, v8
	ds_load_b64 v[10:11], v9
	s_wait_dscnt 0x0
	v_pk_add_f32 v[6:7], v[6:7], v[10:11]
.LBB82_6:
	s_or_b32 exec_lo, exec_lo, s3
.LBB82_7:
	s_delay_alu instid0(SALU_CYCLE_1) | instskip(NEXT) | instid1(SALU_CYCLE_1)
	s_or_b32 exec_lo, exec_lo, s2
	s_mov_b32 s2, exec_lo
	s_barrier_signal -1
	s_barrier_wait -1
	ds_store_b64 v8, v[6:7]
	s_wait_dscnt 0x0
	s_barrier_signal -1
	s_barrier_wait -1
	v_cmpx_lt_u32_e32 1, v0
	s_cbranch_execz .LBB82_11
; %bb.8:
	v_add_nc_u32_e32 v9, -16, v1
	s_mov_b32 s3, exec_lo
	ds_load_b64 v[10:11], v9
	s_wait_dscnt 0x0
	v_cmpx_eq_u64_e64 v[4:5], v[10:11]
	s_cbranch_execz .LBB82_10
; %bb.9:
	v_add_nc_u32_e32 v9, -16, v8
	ds_load_b64 v[10:11], v9
	s_wait_dscnt 0x0
	v_pk_add_f32 v[6:7], v[6:7], v[10:11]
.LBB82_10:
	s_or_b32 exec_lo, exec_lo, s3
.LBB82_11:
	s_delay_alu instid0(SALU_CYCLE_1) | instskip(NEXT) | instid1(SALU_CYCLE_1)
	s_or_b32 exec_lo, exec_lo, s2
	s_mov_b32 s2, exec_lo
	s_barrier_signal -1
	s_barrier_wait -1
	ds_store_b64 v8, v[6:7]
	s_wait_dscnt 0x0
	s_barrier_signal -1
	s_barrier_wait -1
	v_cmpx_lt_u32_e32 3, v0
	s_cbranch_execz .LBB82_15
; %bb.12:
	v_subrev_nc_u32_e32 v9, 32, v1
	s_mov_b32 s3, exec_lo
	ds_load_b64 v[10:11], v9
	s_wait_dscnt 0x0
	v_cmpx_eq_u64_e64 v[4:5], v[10:11]
	s_cbranch_execz .LBB82_14
; %bb.13:
	v_subrev_nc_u32_e32 v9, 32, v8
	ds_load_b64 v[10:11], v9
	s_wait_dscnt 0x0
	v_pk_add_f32 v[6:7], v[6:7], v[10:11]
.LBB82_14:
	s_or_b32 exec_lo, exec_lo, s3
.LBB82_15:
	s_delay_alu instid0(SALU_CYCLE_1) | instskip(NEXT) | instid1(SALU_CYCLE_1)
	s_or_b32 exec_lo, exec_lo, s2
	s_mov_b32 s2, exec_lo
	s_barrier_signal -1
	s_barrier_wait -1
	ds_store_b64 v8, v[6:7]
	s_wait_dscnt 0x0
	s_barrier_signal -1
	s_barrier_wait -1
	v_cmpx_lt_u32_e32 7, v0
	s_cbranch_execz .LBB82_19
; %bb.16:
	v_subrev_nc_u32_e32 v9, 64, v1
	s_mov_b32 s3, exec_lo
	ds_load_b64 v[10:11], v9
	s_wait_dscnt 0x0
	v_cmpx_eq_u64_e64 v[4:5], v[10:11]
	s_cbranch_execz .LBB82_18
; %bb.17:
	v_subrev_nc_u32_e32 v9, 64, v8
	ds_load_b64 v[10:11], v9
	s_wait_dscnt 0x0
	v_pk_add_f32 v[6:7], v[6:7], v[10:11]
.LBB82_18:
	s_or_b32 exec_lo, exec_lo, s3
.LBB82_19:
	s_delay_alu instid0(SALU_CYCLE_1) | instskip(NEXT) | instid1(SALU_CYCLE_1)
	s_or_b32 exec_lo, exec_lo, s2
	s_mov_b32 s2, exec_lo
	s_barrier_signal -1
	s_barrier_wait -1
	ds_store_b64 v8, v[6:7]
	s_wait_dscnt 0x0
	s_barrier_signal -1
	s_barrier_wait -1
	v_cmpx_lt_u32_e32 15, v0
	s_cbranch_execz .LBB82_23
; %bb.20:
	v_add_nc_u32_e32 v9, 0xffffff80, v1
	s_mov_b32 s3, exec_lo
	ds_load_b64 v[10:11], v9
	s_wait_dscnt 0x0
	v_cmpx_eq_u64_e64 v[4:5], v[10:11]
	s_cbranch_execz .LBB82_22
; %bb.21:
	v_add_nc_u32_e32 v9, 0xffffff80, v8
	ds_load_b64 v[10:11], v9
	s_wait_dscnt 0x0
	v_pk_add_f32 v[6:7], v[6:7], v[10:11]
.LBB82_22:
	s_or_b32 exec_lo, exec_lo, s3
.LBB82_23:
	s_delay_alu instid0(SALU_CYCLE_1) | instskip(NEXT) | instid1(SALU_CYCLE_1)
	s_or_b32 exec_lo, exec_lo, s2
	s_mov_b32 s2, exec_lo
	s_barrier_signal -1
	s_barrier_wait -1
	ds_store_b64 v8, v[6:7]
	s_wait_dscnt 0x0
	s_barrier_signal -1
	s_barrier_wait -1
	v_cmpx_lt_u32_e32 31, v0
	s_cbranch_execz .LBB82_27
; %bb.24:
	v_add_nc_u32_e32 v9, 0xffffff00, v1
	s_mov_b32 s3, exec_lo
	ds_load_b64 v[10:11], v9
	s_wait_dscnt 0x0
	v_cmpx_eq_u64_e64 v[4:5], v[10:11]
	s_cbranch_execz .LBB82_26
; %bb.25:
	v_add_nc_u32_e32 v9, 0xffffff00, v8
	ds_load_b64 v[10:11], v9
	s_wait_dscnt 0x0
	v_pk_add_f32 v[6:7], v[6:7], v[10:11]
.LBB82_26:
	s_or_b32 exec_lo, exec_lo, s3
.LBB82_27:
	;; [unrolled: 26-line block ×4, first 2 shown]
	s_delay_alu instid0(SALU_CYCLE_1)
	s_or_b32 exec_lo, exec_lo, s2
	s_load_b64 s[2:3], s[0:1], 0x30
	s_wait_xcnt 0x0
	s_mov_b32 s1, exec_lo
	s_barrier_signal -1
	s_barrier_wait -1
	ds_store_b64 v8, v[6:7]
	s_wait_dscnt 0x0
	s_barrier_signal -1
	s_barrier_wait -1
	v_cmpx_gt_u32_e32 0xff, v0
	s_cbranch_execz .LBB82_38
; %bb.36:
	ds_load_b64 v[8:9], v1 offset:8
	v_cmp_lt_i64_e64 s0, -1, v[4:5]
	s_wait_dscnt 0x0
	v_cmp_ne_u64_e32 vcc_lo, v[4:5], v[8:9]
	s_and_b32 s0, s0, vcc_lo
	s_delay_alu instid0(SALU_CYCLE_1)
	s_and_b32 exec_lo, exec_lo, s0
	s_cbranch_execz .LBB82_38
; %bb.37:
	v_mul_f32_e64 v1, v7, -v3
	v_mul_f32_e32 v10, v2, v7
	s_wait_kmcnt 0x0
	v_lshl_add_u64 v[8:9], v[4:5], 3, s[2:3]
	s_delay_alu instid0(VALU_DEP_2)
	v_dual_fmac_f32 v1, v2, v6 :: v_dual_fmac_f32 v10, v3, v6
	global_atomic_add_f32 v[8:9], v1, off scope:SCOPE_DEV
	s_wait_xcnt 0x0
	global_atomic_add_f32 v[8:9], v10, off offset:4 scope:SCOPE_DEV
.LBB82_38:
	s_wait_xcnt 0x0
	s_or_b32 exec_lo, exec_lo, s1
	v_cmp_lt_i64_e32 vcc_lo, -1, v[4:5]
	v_cmp_eq_u32_e64 s0, 0xff, v0
	s_and_b32 s0, s0, vcc_lo
	s_delay_alu instid0(SALU_CYCLE_1)
	s_and_b32 exec_lo, exec_lo, s0
	s_cbranch_execz .LBB82_40
; %bb.39:
	v_mul_f32_e64 v8, v7, -v3
	v_mul_f32_e32 v7, v2, v7
	s_wait_kmcnt 0x0
	v_lshl_add_u64 v[0:1], v[4:5], 3, s[2:3]
	s_delay_alu instid0(VALU_DEP_2)
	v_dual_fmac_f32 v8, v2, v6 :: v_dual_fmac_f32 v7, v3, v6
	global_atomic_add_f32 v[0:1], v8, off scope:SCOPE_DEV
	s_wait_xcnt 0x0
	global_atomic_add_f32 v[0:1], v7, off offset:4 scope:SCOPE_DEV
.LBB82_40:
	s_endpgm
	.section	.rodata,"a",@progbits
	.p2align	6, 0x0
	.amdhsa_kernel _ZN9rocsparseL19coomvn_atomic_loopsILj256ELj1Elf21rocsparse_complex_numIfES2_S2_EEvlNS_24const_host_device_scalarIT5_EEPKT1_S8_PKT2_PKT3_PT4_21rocsparse_index_base_b
		.amdhsa_group_segment_fixed_size 4096
		.amdhsa_private_segment_fixed_size 0
		.amdhsa_kernarg_size 64
		.amdhsa_user_sgpr_count 2
		.amdhsa_user_sgpr_dispatch_ptr 0
		.amdhsa_user_sgpr_queue_ptr 0
		.amdhsa_user_sgpr_kernarg_segment_ptr 1
		.amdhsa_user_sgpr_dispatch_id 0
		.amdhsa_user_sgpr_kernarg_preload_length 0
		.amdhsa_user_sgpr_kernarg_preload_offset 0
		.amdhsa_user_sgpr_private_segment_size 0
		.amdhsa_wavefront_size32 1
		.amdhsa_uses_dynamic_stack 0
		.amdhsa_enable_private_segment 0
		.amdhsa_system_sgpr_workgroup_id_x 1
		.amdhsa_system_sgpr_workgroup_id_y 0
		.amdhsa_system_sgpr_workgroup_id_z 0
		.amdhsa_system_sgpr_workgroup_info 0
		.amdhsa_system_vgpr_workitem_id 0
		.amdhsa_next_free_vgpr 16
		.amdhsa_next_free_sgpr 20
		.amdhsa_named_barrier_count 0
		.amdhsa_reserve_vcc 1
		.amdhsa_float_round_mode_32 0
		.amdhsa_float_round_mode_16_64 0
		.amdhsa_float_denorm_mode_32 3
		.amdhsa_float_denorm_mode_16_64 3
		.amdhsa_fp16_overflow 0
		.amdhsa_memory_ordered 1
		.amdhsa_forward_progress 1
		.amdhsa_inst_pref_size 12
		.amdhsa_round_robin_scheduling 0
		.amdhsa_exception_fp_ieee_invalid_op 0
		.amdhsa_exception_fp_denorm_src 0
		.amdhsa_exception_fp_ieee_div_zero 0
		.amdhsa_exception_fp_ieee_overflow 0
		.amdhsa_exception_fp_ieee_underflow 0
		.amdhsa_exception_fp_ieee_inexact 0
		.amdhsa_exception_int_div_zero 0
	.end_amdhsa_kernel
	.section	.text._ZN9rocsparseL19coomvn_atomic_loopsILj256ELj1Elf21rocsparse_complex_numIfES2_S2_EEvlNS_24const_host_device_scalarIT5_EEPKT1_S8_PKT2_PKT3_PT4_21rocsparse_index_base_b,"axG",@progbits,_ZN9rocsparseL19coomvn_atomic_loopsILj256ELj1Elf21rocsparse_complex_numIfES2_S2_EEvlNS_24const_host_device_scalarIT5_EEPKT1_S8_PKT2_PKT3_PT4_21rocsparse_index_base_b,comdat
.Lfunc_end82:
	.size	_ZN9rocsparseL19coomvn_atomic_loopsILj256ELj1Elf21rocsparse_complex_numIfES2_S2_EEvlNS_24const_host_device_scalarIT5_EEPKT1_S8_PKT2_PKT3_PT4_21rocsparse_index_base_b, .Lfunc_end82-_ZN9rocsparseL19coomvn_atomic_loopsILj256ELj1Elf21rocsparse_complex_numIfES2_S2_EEvlNS_24const_host_device_scalarIT5_EEPKT1_S8_PKT2_PKT3_PT4_21rocsparse_index_base_b
                                        ; -- End function
	.set _ZN9rocsparseL19coomvn_atomic_loopsILj256ELj1Elf21rocsparse_complex_numIfES2_S2_EEvlNS_24const_host_device_scalarIT5_EEPKT1_S8_PKT2_PKT3_PT4_21rocsparse_index_base_b.num_vgpr, 16
	.set _ZN9rocsparseL19coomvn_atomic_loopsILj256ELj1Elf21rocsparse_complex_numIfES2_S2_EEvlNS_24const_host_device_scalarIT5_EEPKT1_S8_PKT2_PKT3_PT4_21rocsparse_index_base_b.num_agpr, 0
	.set _ZN9rocsparseL19coomvn_atomic_loopsILj256ELj1Elf21rocsparse_complex_numIfES2_S2_EEvlNS_24const_host_device_scalarIT5_EEPKT1_S8_PKT2_PKT3_PT4_21rocsparse_index_base_b.numbered_sgpr, 20
	.set _ZN9rocsparseL19coomvn_atomic_loopsILj256ELj1Elf21rocsparse_complex_numIfES2_S2_EEvlNS_24const_host_device_scalarIT5_EEPKT1_S8_PKT2_PKT3_PT4_21rocsparse_index_base_b.num_named_barrier, 0
	.set _ZN9rocsparseL19coomvn_atomic_loopsILj256ELj1Elf21rocsparse_complex_numIfES2_S2_EEvlNS_24const_host_device_scalarIT5_EEPKT1_S8_PKT2_PKT3_PT4_21rocsparse_index_base_b.private_seg_size, 0
	.set _ZN9rocsparseL19coomvn_atomic_loopsILj256ELj1Elf21rocsparse_complex_numIfES2_S2_EEvlNS_24const_host_device_scalarIT5_EEPKT1_S8_PKT2_PKT3_PT4_21rocsparse_index_base_b.uses_vcc, 1
	.set _ZN9rocsparseL19coomvn_atomic_loopsILj256ELj1Elf21rocsparse_complex_numIfES2_S2_EEvlNS_24const_host_device_scalarIT5_EEPKT1_S8_PKT2_PKT3_PT4_21rocsparse_index_base_b.uses_flat_scratch, 0
	.set _ZN9rocsparseL19coomvn_atomic_loopsILj256ELj1Elf21rocsparse_complex_numIfES2_S2_EEvlNS_24const_host_device_scalarIT5_EEPKT1_S8_PKT2_PKT3_PT4_21rocsparse_index_base_b.has_dyn_sized_stack, 0
	.set _ZN9rocsparseL19coomvn_atomic_loopsILj256ELj1Elf21rocsparse_complex_numIfES2_S2_EEvlNS_24const_host_device_scalarIT5_EEPKT1_S8_PKT2_PKT3_PT4_21rocsparse_index_base_b.has_recursion, 0
	.set _ZN9rocsparseL19coomvn_atomic_loopsILj256ELj1Elf21rocsparse_complex_numIfES2_S2_EEvlNS_24const_host_device_scalarIT5_EEPKT1_S8_PKT2_PKT3_PT4_21rocsparse_index_base_b.has_indirect_call, 0
	.section	.AMDGPU.csdata,"",@progbits
; Kernel info:
; codeLenInByte = 1508
; TotalNumSgprs: 22
; NumVgprs: 16
; ScratchSize: 0
; MemoryBound: 0
; FloatMode: 240
; IeeeMode: 1
; LDSByteSize: 4096 bytes/workgroup (compile time only)
; SGPRBlocks: 0
; VGPRBlocks: 0
; NumSGPRsForWavesPerEU: 22
; NumVGPRsForWavesPerEU: 16
; NamedBarCnt: 0
; Occupancy: 16
; WaveLimiterHint : 1
; COMPUTE_PGM_RSRC2:SCRATCH_EN: 0
; COMPUTE_PGM_RSRC2:USER_SGPR: 2
; COMPUTE_PGM_RSRC2:TRAP_HANDLER: 0
; COMPUTE_PGM_RSRC2:TGID_X_EN: 1
; COMPUTE_PGM_RSRC2:TGID_Y_EN: 0
; COMPUTE_PGM_RSRC2:TGID_Z_EN: 0
; COMPUTE_PGM_RSRC2:TIDIG_COMP_CNT: 0
	.section	.text._ZN9rocsparseL19coomvn_atomic_loopsILj256ELj2Elf21rocsparse_complex_numIfES2_S2_EEvlNS_24const_host_device_scalarIT5_EEPKT1_S8_PKT2_PKT3_PT4_21rocsparse_index_base_b,"axG",@progbits,_ZN9rocsparseL19coomvn_atomic_loopsILj256ELj2Elf21rocsparse_complex_numIfES2_S2_EEvlNS_24const_host_device_scalarIT5_EEPKT1_S8_PKT2_PKT3_PT4_21rocsparse_index_base_b,comdat
	.globl	_ZN9rocsparseL19coomvn_atomic_loopsILj256ELj2Elf21rocsparse_complex_numIfES2_S2_EEvlNS_24const_host_device_scalarIT5_EEPKT1_S8_PKT2_PKT3_PT4_21rocsparse_index_base_b ; -- Begin function _ZN9rocsparseL19coomvn_atomic_loopsILj256ELj2Elf21rocsparse_complex_numIfES2_S2_EEvlNS_24const_host_device_scalarIT5_EEPKT1_S8_PKT2_PKT3_PT4_21rocsparse_index_base_b
	.p2align	8
	.type	_ZN9rocsparseL19coomvn_atomic_loopsILj256ELj2Elf21rocsparse_complex_numIfES2_S2_EEvlNS_24const_host_device_scalarIT5_EEPKT1_S8_PKT2_PKT3_PT4_21rocsparse_index_base_b,@function
_ZN9rocsparseL19coomvn_atomic_loopsILj256ELj2Elf21rocsparse_complex_numIfES2_S2_EEvlNS_24const_host_device_scalarIT5_EEPKT1_S8_PKT2_PKT3_PT4_21rocsparse_index_base_b: ; @_ZN9rocsparseL19coomvn_atomic_loopsILj256ELj2Elf21rocsparse_complex_numIfES2_S2_EEvlNS_24const_host_device_scalarIT5_EEPKT1_S8_PKT2_PKT3_PT4_21rocsparse_index_base_b
; %bb.0:
	s_clause 0x1
	s_load_b64 s[24:25], s[0:1], 0x38
	s_load_b128 s[20:23], s[0:1], 0x0
	v_mov_b32_e32 v5, 0
	s_or_b64 s[2:3], s[0:1], 8
	s_wait_kmcnt 0x0
	s_bitcmp1_b32 s25, 0
	s_cselect_b32 s3, s3, s23
	s_cselect_b32 s2, s2, s22
	flat_load_b64 v[2:3], v5, s[2:3]
	s_wait_loadcnt_dscnt 0x0
	v_cmp_neq_f32_e32 vcc_lo, 0, v2
	v_cmp_neq_f32_e64 s2, 0, v3
	s_or_b32 s2, vcc_lo, s2
	s_delay_alu instid0(SALU_CYCLE_1)
	s_and_saveexec_b32 s3, s2
	s_cbranch_execz .LBB83_92
; %bb.1:
	s_load_b256 s[12:19], s[0:1], 0x10
	s_bfe_u32 s2, ttmp6, 0x4000c
	s_and_b32 s3, ttmp6, 15
	s_add_co_i32 s2, s2, 1
	s_getreg_b32 s4, hwreg(HW_REG_IB_STS2, 6, 4)
	s_mul_i32 s2, ttmp9, s2
	v_mov_b64_e32 v[6:7], -1
	s_add_co_i32 s3, s3, s2
	s_cmp_eq_u32 s4, 0
	v_mov_b64_e32 v[12:13], 0
	s_cselect_b32 s2, ttmp9, s3
	s_delay_alu instid0(SALU_CYCLE_1) | instskip(SKIP_1) | instid1(VALU_DEP_1)
	v_lshl_or_b32 v4, s2, 9, v0
	s_mov_b32 s2, exec_lo
	v_lshlrev_b64_e32 v[10:11], 3, v[4:5]
	s_wait_kmcnt 0x0
	v_lshl_add_u64 v[8:9], v[4:5], 2, s[16:17]
	v_cmpx_gt_i64_e64 s[20:21], v[4:5]
	s_cbranch_execz .LBB83_3
; %bb.2:
	s_delay_alu instid0(VALU_DEP_3)
	v_add_nc_u64_e32 v[6:7], s[14:15], v[10:11]
	s_mov_b32 s25, 0
	v_add_nc_u64_e32 v[12:13], s[12:13], v[10:11]
	v_bfrev_b32_e32 v14, 1
	global_load_b64 v[6:7], v[6:7], off th:TH_LOAD_NT
	s_wait_loadcnt 0x0
	v_sub_nc_u64_e64 v[6:7], v[6:7], s[24:25]
	s_delay_alu instid0(VALU_DEP_1)
	v_lshl_add_u64 v[6:7], v[6:7], 3, s[18:19]
	global_load_b32 v15, v[8:9], off th:TH_LOAD_NT
	global_load_b64 v[16:17], v[6:7], off
	global_load_b64 v[18:19], v[12:13], off th:TH_LOAD_NT
	s_wait_loadcnt 0x2
	s_wait_xcnt 0x0
	v_dual_mov_b32 v13, 0 :: v_dual_mov_b32 v12, v15
	s_wait_loadcnt 0x1
	v_pk_mul_f32 v[20:21], v[16:17], v[14:15] op_sel:[1,0]
	s_wait_loadcnt 0x0
	v_sub_nc_u64_e64 v[6:7], v[18:19], s[24:25]
	s_delay_alu instid0(VALU_DEP_2)
	v_pk_fma_f32 v[12:13], v[16:17], v[12:13], v[20:21] op_sel_hi:[0,1,1]
.LBB83_3:
	s_or_b32 exec_lo, exec_lo, s2
	v_lshlrev_b32_e32 v1, 3, v0
	v_cmp_ne_u32_e64 s2, 0, v0
	v_cmp_eq_u32_e32 vcc_lo, 0, v0
	s_delay_alu instid0(VALU_DEP_3)
	v_or_b32_e32 v14, 0x800, v1
	v_add_nc_u32_e32 v15, -8, v1
	ds_store_2addr_stride64_b64 v1, v[6:7], v[12:13] offset1:4
	s_wait_dscnt 0x0
	s_barrier_signal -1
	s_barrier_wait -1
	s_and_saveexec_b32 s4, s2
	s_cbranch_execz .LBB83_7
; %bb.4:
	ds_load_b64 v[16:17], v15
	s_mov_b32 s5, exec_lo
	s_wait_dscnt 0x0
	v_cmpx_eq_u64_e64 v[6:7], v[16:17]
	s_cbranch_execz .LBB83_6
; %bb.5:
	v_add_nc_u32_e32 v16, -8, v14
	ds_load_b64 v[16:17], v16
	s_wait_dscnt 0x0
	v_pk_add_f32 v[12:13], v[12:13], v[16:17]
.LBB83_6:
	s_or_b32 exec_lo, exec_lo, s5
.LBB83_7:
	s_delay_alu instid0(SALU_CYCLE_1)
	s_or_b32 exec_lo, exec_lo, s4
	v_cmp_lt_u32_e64 s3, 1, v0
	v_add_nc_u32_e32 v16, -16, v1
	s_barrier_signal -1
	s_barrier_wait -1
	ds_store_b64 v14, v[12:13]
	s_wait_dscnt 0x0
	s_barrier_signal -1
	s_barrier_wait -1
	s_and_saveexec_b32 s5, s3
	s_cbranch_execz .LBB83_11
; %bb.8:
	ds_load_b64 v[18:19], v16
	s_mov_b32 s6, exec_lo
	s_wait_dscnt 0x0
	v_cmpx_eq_u64_e64 v[6:7], v[18:19]
	s_cbranch_execz .LBB83_10
; %bb.9:
	v_add_nc_u32_e32 v17, -16, v14
	ds_load_b64 v[18:19], v17
	s_wait_dscnt 0x0
	v_pk_add_f32 v[12:13], v[12:13], v[18:19]
.LBB83_10:
	s_or_b32 exec_lo, exec_lo, s6
.LBB83_11:
	s_delay_alu instid0(SALU_CYCLE_1)
	s_or_b32 exec_lo, exec_lo, s5
	v_cmp_lt_u32_e64 s4, 3, v0
	v_subrev_nc_u32_e32 v17, 32, v1
	s_barrier_signal -1
	s_barrier_wait -1
	ds_store_b64 v14, v[12:13]
	s_wait_dscnt 0x0
	s_barrier_signal -1
	s_barrier_wait -1
	s_and_saveexec_b32 s6, s4
	s_cbranch_execz .LBB83_15
; %bb.12:
	ds_load_b64 v[18:19], v17
	s_mov_b32 s7, exec_lo
	s_wait_dscnt 0x0
	v_cmpx_eq_u64_e64 v[6:7], v[18:19]
	s_cbranch_execz .LBB83_14
; %bb.13:
	v_subrev_nc_u32_e32 v18, 32, v14
	ds_load_b64 v[18:19], v18
	s_wait_dscnt 0x0
	v_pk_add_f32 v[12:13], v[12:13], v[18:19]
.LBB83_14:
	s_or_b32 exec_lo, exec_lo, s7
.LBB83_15:
	s_delay_alu instid0(SALU_CYCLE_1)
	s_or_b32 exec_lo, exec_lo, s6
	v_cmp_lt_u32_e64 s5, 7, v0
	v_subrev_nc_u32_e32 v18, 64, v1
	s_barrier_signal -1
	s_barrier_wait -1
	ds_store_b64 v14, v[12:13]
	s_wait_dscnt 0x0
	s_barrier_signal -1
	s_barrier_wait -1
	s_and_saveexec_b32 s7, s5
	s_cbranch_execz .LBB83_19
; %bb.16:
	ds_load_b64 v[20:21], v18
	s_mov_b32 s8, exec_lo
	s_wait_dscnt 0x0
	v_cmpx_eq_u64_e64 v[6:7], v[20:21]
	s_cbranch_execz .LBB83_18
; %bb.17:
	v_subrev_nc_u32_e32 v19, 64, v14
	ds_load_b64 v[20:21], v19
	s_wait_dscnt 0x0
	v_pk_add_f32 v[12:13], v[12:13], v[20:21]
.LBB83_18:
	s_or_b32 exec_lo, exec_lo, s8
.LBB83_19:
	s_delay_alu instid0(SALU_CYCLE_1)
	s_or_b32 exec_lo, exec_lo, s7
	v_cmp_lt_u32_e64 s6, 15, v0
	v_add_nc_u32_e32 v19, 0xffffff80, v1
	s_barrier_signal -1
	s_barrier_wait -1
	ds_store_b64 v14, v[12:13]
	s_wait_dscnt 0x0
	s_barrier_signal -1
	s_barrier_wait -1
	s_and_saveexec_b32 s8, s6
	s_cbranch_execz .LBB83_23
; %bb.20:
	ds_load_b64 v[20:21], v19
	s_mov_b32 s9, exec_lo
	s_wait_dscnt 0x0
	v_cmpx_eq_u64_e64 v[6:7], v[20:21]
	s_cbranch_execz .LBB83_22
; %bb.21:
	v_add_nc_u32_e32 v20, 0xffffff80, v14
	ds_load_b64 v[20:21], v20
	s_wait_dscnt 0x0
	v_pk_add_f32 v[12:13], v[12:13], v[20:21]
.LBB83_22:
	s_or_b32 exec_lo, exec_lo, s9
.LBB83_23:
	s_delay_alu instid0(SALU_CYCLE_1)
	s_or_b32 exec_lo, exec_lo, s8
	v_cmp_lt_u32_e64 s7, 31, v0
	v_add_nc_u32_e32 v20, 0xffffff00, v1
	s_barrier_signal -1
	s_barrier_wait -1
	ds_store_b64 v14, v[12:13]
	s_wait_dscnt 0x0
	s_barrier_signal -1
	s_barrier_wait -1
	s_and_saveexec_b32 s9, s7
	s_cbranch_execz .LBB83_27
; %bb.24:
	ds_load_b64 v[22:23], v20
	s_mov_b32 s10, exec_lo
	s_wait_dscnt 0x0
	v_cmpx_eq_u64_e64 v[6:7], v[22:23]
	s_cbranch_execz .LBB83_26
; %bb.25:
	v_add_nc_u32_e32 v21, 0xffffff00, v14
	ds_load_b64 v[22:23], v21
	s_wait_dscnt 0x0
	v_pk_add_f32 v[12:13], v[12:13], v[22:23]
.LBB83_26:
	s_or_b32 exec_lo, exec_lo, s10
.LBB83_27:
	;; [unrolled: 26-line block ×4, first 2 shown]
	s_delay_alu instid0(SALU_CYCLE_1)
	s_or_b32 exec_lo, exec_lo, s11
	s_load_b64 s[16:17], s[0:1], 0x30
	s_wait_xcnt 0x0
	v_cmp_gt_u32_e64 s0, 0xff, v0
	s_barrier_signal -1
	s_barrier_wait -1
	ds_store_b64 v14, v[12:13]
	s_wait_dscnt 0x0
	s_barrier_signal -1
	s_barrier_wait -1
	s_and_saveexec_b32 s11, s0
	s_cbranch_execz .LBB83_38
; %bb.36:
	ds_load_b64 v[24:25], v1 offset:8
	v_cmp_lt_i64_e64 s10, -1, v[6:7]
	s_wait_dscnt 0x0
	v_cmp_ne_u64_e64 s1, v[6:7], v[24:25]
	s_and_b32 s1, s10, s1
	s_delay_alu instid0(SALU_CYCLE_1)
	s_and_b32 exec_lo, exec_lo, s1
	s_cbranch_execz .LBB83_38
; %bb.37:
	v_dual_mul_f32 v23, v13, -v3 :: v_dual_mul_f32 v13, v2, v13
	s_wait_kmcnt 0x0
	v_lshl_add_u64 v[6:7], v[6:7], 3, s[16:17]
	s_delay_alu instid0(VALU_DEP_2)
	v_dual_fmac_f32 v23, v2, v12 :: v_dual_fmac_f32 v13, v3, v12
	global_atomic_add_f32 v[6:7], v23, off scope:SCOPE_DEV
	s_wait_xcnt 0x0
	global_atomic_add_f32 v[6:7], v13, off offset:4 scope:SCOPE_DEV
.LBB83_38:
	s_wait_xcnt 0x0
	s_or_b32 exec_lo, exec_lo, s11
	v_add_nc_u64_e32 v[6:7], 0x100, v[4:5]
	v_mov_b64_e32 v[4:5], -1
	s_delay_alu instid0(VALU_DEP_2)
	v_cmp_gt_i64_e64 s1, s[20:21], v[6:7]
	v_mov_b64_e32 v[6:7], 0
	s_and_saveexec_b32 s10, s1
	s_cbranch_execz .LBB83_40
; %bb.39:
	v_add_nc_u64_e32 v[4:5], s[14:15], v[10:11]
	s_mov_b32 s25, 0
	v_add_nc_u64_e32 v[6:7], s[12:13], v[10:11]
	v_bfrev_b32_e32 v10, 1
	global_load_b64 v[4:5], v[4:5], off offset:2048 th:TH_LOAD_NT
	s_wait_loadcnt 0x0
	v_sub_nc_u64_e64 v[4:5], v[4:5], s[24:25]
	s_delay_alu instid0(VALU_DEP_1)
	v_lshl_add_u64 v[4:5], v[4:5], 3, s[18:19]
	global_load_b32 v11, v[8:9], off offset:1024 th:TH_LOAD_NT
	global_load_b64 v[12:13], v[4:5], off
	global_load_b64 v[24:25], v[6:7], off offset:2048 th:TH_LOAD_NT
	s_wait_loadcnt 0x2
	s_wait_xcnt 0x0
	v_dual_mov_b32 v7, 0 :: v_dual_mov_b32 v6, v11
	s_wait_loadcnt 0x1
	v_pk_mul_f32 v[8:9], v[12:13], v[10:11] op_sel:[1,0]
	s_wait_loadcnt 0x0
	v_sub_nc_u64_e64 v[4:5], v[24:25], s[24:25]
	s_delay_alu instid0(VALU_DEP_2)
	v_pk_fma_f32 v[6:7], v[12:13], v[6:7], v[8:9] op_sel_hi:[0,1,1]
.LBB83_40:
	s_or_b32 exec_lo, exec_lo, s10
	s_and_saveexec_b32 s1, vcc_lo
	s_cbranch_execz .LBB83_55
; %bb.41:
	v_mov_b32_e32 v8, 0
	s_mov_b32 s10, exec_lo
	ds_load_b64 v[8:9], v8 offset:2040
	s_wait_dscnt 0x0
	v_cmpx_ne_u64_e64 v[4:5], v[8:9]
	s_xor_b32 s10, exec_lo, s10
	s_cbranch_execz .LBB83_52
; %bb.42:
	v_cmp_gt_i64_e32 vcc_lo, 0, v[8:9]
	s_cbranch_vccnz .LBB83_52
; %bb.43:
	v_mov_b32_e32 v10, 0
	s_mov_b32 s12, exec_lo
	s_brev_b32 s11, 1
	ds_load_b64 v[10:11], v10 offset:4088
	s_wait_dscnt 0x0
	v_mul_f32_e64 v12, v11, -v3
	s_delay_alu instid0(VALU_DEP_1)
	v_fmac_f32_e32 v12, v2, v10
.LBB83_44:                              ; =>This Inner Loop Header: Depth=1
	s_ctz_i32_b32 s13, s12
	s_delay_alu instid0(VALU_DEP_1) | instid1(SALU_CYCLE_1)
	v_readlane_b32 s14, v12, s13
	s_lshl_b32 s13, 1, s13
	s_delay_alu instid0(SALU_CYCLE_1) | instskip(NEXT) | instid1(SALU_CYCLE_1)
	s_and_not1_b32 s12, s12, s13
	s_cmp_lg_u32 s12, 0
	s_add_f32 s11, s11, s14
	s_cbranch_scc1 .LBB83_44
; %bb.45:
	v_lshlrev_b64_e32 v[8:9], 3, v[8:9]
	v_mbcnt_lo_u32_b32 v12, exec_lo, 0
	s_mov_b32 s12, exec_lo
	s_wait_kmcnt 0x0
	s_delay_alu instid0(VALU_DEP_2) | instskip(NEXT) | instid1(VALU_DEP_2)
	v_add_nc_u64_e32 v[8:9], s[16:17], v[8:9]
	v_cmpx_eq_u32_e32 0, v12
	s_xor_b32 s12, exec_lo, s12
	s_cbranch_execz .LBB83_47
; %bb.46:
	v_mov_b32_e32 v12, s11
	global_atomic_add_f32 v[8:9], v12, off scope:SCOPE_DEV
.LBB83_47:
	s_wait_xcnt 0x0
	s_or_b32 exec_lo, exec_lo, s12
	v_mul_f32_e32 v11, v2, v11
	s_mov_b32 s12, exec_lo
	s_brev_b32 s11, 1
	s_delay_alu instid0(VALU_DEP_1)
	v_fmac_f32_e32 v11, v3, v10
.LBB83_48:                              ; =>This Inner Loop Header: Depth=1
	s_ctz_i32_b32 s13, s12
	s_delay_alu instid0(VALU_DEP_1) | instid1(SALU_CYCLE_1)
	v_readlane_b32 s14, v11, s13
	s_lshl_b32 s13, 1, s13
	s_delay_alu instid0(SALU_CYCLE_1) | instskip(NEXT) | instid1(SALU_CYCLE_1)
	s_and_not1_b32 s12, s12, s13
	s_cmp_lg_u32 s12, 0
	s_add_f32 s11, s11, s14
	s_cbranch_scc1 .LBB83_48
; %bb.49:
	v_mbcnt_lo_u32_b32 v10, exec_lo, 0
	s_mov_b32 s12, exec_lo
	s_delay_alu instid0(VALU_DEP_1)
	v_cmpx_eq_u32_e32 0, v10
	s_xor_b32 s12, exec_lo, s12
	s_cbranch_execz .LBB83_51
; %bb.50:
	v_mov_b32_e32 v10, s11
	global_atomic_add_f32 v[8:9], v10, off offset:4 scope:SCOPE_DEV
.LBB83_51:
	s_wait_xcnt 0x0
	s_or_b32 exec_lo, exec_lo, s12
.LBB83_52:
	s_and_not1_saveexec_b32 s10, s10
	s_cbranch_execz .LBB83_54
; %bb.53:
	v_mov_b32_e32 v8, 0
	ds_load_b64 v[8:9], v8 offset:4088
	s_wait_dscnt 0x0
	v_pk_add_f32 v[6:7], v[6:7], v[8:9]
.LBB83_54:
	s_or_b32 exec_lo, exec_lo, s10
.LBB83_55:
	s_delay_alu instid0(SALU_CYCLE_1)
	s_or_b32 exec_lo, exec_lo, s1
	s_wait_storecnt 0x0
	s_barrier_signal -1
	s_barrier_wait -1
	ds_store_b64 v1, v[4:5]
	ds_store_b64 v14, v[6:7]
	s_wait_dscnt 0x0
	s_barrier_signal -1
	s_barrier_wait -1
	s_and_saveexec_b32 s1, s2
	s_cbranch_execz .LBB83_59
; %bb.56:
	ds_load_b64 v[8:9], v15
	s_mov_b32 s2, exec_lo
	s_wait_dscnt 0x0
	v_cmpx_eq_u64_e64 v[4:5], v[8:9]
	s_cbranch_execz .LBB83_58
; %bb.57:
	v_add_nc_u32_e32 v8, -8, v14
	ds_load_b64 v[8:9], v8
	s_wait_dscnt 0x0
	v_pk_add_f32 v[6:7], v[6:7], v[8:9]
.LBB83_58:
	s_or_b32 exec_lo, exec_lo, s2
.LBB83_59:
	s_delay_alu instid0(SALU_CYCLE_1)
	s_or_b32 exec_lo, exec_lo, s1
	s_barrier_signal -1
	s_barrier_wait -1
	ds_store_b64 v14, v[6:7]
	s_wait_dscnt 0x0
	s_barrier_signal -1
	s_barrier_wait -1
	s_and_saveexec_b32 s1, s3
	s_cbranch_execz .LBB83_63
; %bb.60:
	ds_load_b64 v[8:9], v16
	s_mov_b32 s2, exec_lo
	s_wait_dscnt 0x0
	v_cmpx_eq_u64_e64 v[4:5], v[8:9]
	s_cbranch_execz .LBB83_62
; %bb.61:
	v_add_nc_u32_e32 v8, -16, v14
	ds_load_b64 v[8:9], v8
	s_wait_dscnt 0x0
	v_pk_add_f32 v[6:7], v[6:7], v[8:9]
.LBB83_62:
	s_or_b32 exec_lo, exec_lo, s2
.LBB83_63:
	s_delay_alu instid0(SALU_CYCLE_1)
	s_or_b32 exec_lo, exec_lo, s1
	s_barrier_signal -1
	s_barrier_wait -1
	ds_store_b64 v14, v[6:7]
	s_wait_dscnt 0x0
	s_barrier_signal -1
	s_barrier_wait -1
	s_and_saveexec_b32 s1, s4
	s_cbranch_execz .LBB83_67
; %bb.64:
	ds_load_b64 v[8:9], v17
	s_mov_b32 s2, exec_lo
	s_wait_dscnt 0x0
	v_cmpx_eq_u64_e64 v[4:5], v[8:9]
	s_cbranch_execz .LBB83_66
; %bb.65:
	v_subrev_nc_u32_e32 v8, 32, v14
	ds_load_b64 v[8:9], v8
	s_wait_dscnt 0x0
	v_pk_add_f32 v[6:7], v[6:7], v[8:9]
.LBB83_66:
	s_or_b32 exec_lo, exec_lo, s2
.LBB83_67:
	s_delay_alu instid0(SALU_CYCLE_1)
	s_or_b32 exec_lo, exec_lo, s1
	s_barrier_signal -1
	s_barrier_wait -1
	ds_store_b64 v14, v[6:7]
	s_wait_dscnt 0x0
	s_barrier_signal -1
	s_barrier_wait -1
	s_and_saveexec_b32 s1, s5
	s_cbranch_execz .LBB83_71
; %bb.68:
	ds_load_b64 v[8:9], v18
	s_mov_b32 s2, exec_lo
	s_wait_dscnt 0x0
	v_cmpx_eq_u64_e64 v[4:5], v[8:9]
	s_cbranch_execz .LBB83_70
; %bb.69:
	v_subrev_nc_u32_e32 v8, 64, v14
	ds_load_b64 v[8:9], v8
	s_wait_dscnt 0x0
	v_pk_add_f32 v[6:7], v[6:7], v[8:9]
.LBB83_70:
	s_or_b32 exec_lo, exec_lo, s2
.LBB83_71:
	s_delay_alu instid0(SALU_CYCLE_1)
	s_or_b32 exec_lo, exec_lo, s1
	s_barrier_signal -1
	s_barrier_wait -1
	ds_store_b64 v14, v[6:7]
	s_wait_dscnt 0x0
	s_barrier_signal -1
	s_barrier_wait -1
	s_and_saveexec_b32 s1, s6
	s_cbranch_execz .LBB83_75
; %bb.72:
	ds_load_b64 v[8:9], v19
	s_mov_b32 s2, exec_lo
	s_wait_dscnt 0x0
	v_cmpx_eq_u64_e64 v[4:5], v[8:9]
	s_cbranch_execz .LBB83_74
; %bb.73:
	v_add_nc_u32_e32 v8, 0xffffff80, v14
	ds_load_b64 v[8:9], v8
	s_wait_dscnt 0x0
	v_pk_add_f32 v[6:7], v[6:7], v[8:9]
.LBB83_74:
	s_or_b32 exec_lo, exec_lo, s2
.LBB83_75:
	s_delay_alu instid0(SALU_CYCLE_1)
	s_or_b32 exec_lo, exec_lo, s1
	s_barrier_signal -1
	s_barrier_wait -1
	ds_store_b64 v14, v[6:7]
	s_wait_dscnt 0x0
	s_barrier_signal -1
	s_barrier_wait -1
	s_and_saveexec_b32 s1, s7
	s_cbranch_execz .LBB83_79
; %bb.76:
	ds_load_b64 v[8:9], v20
	s_mov_b32 s2, exec_lo
	s_wait_dscnt 0x0
	v_cmpx_eq_u64_e64 v[4:5], v[8:9]
	s_cbranch_execz .LBB83_78
; %bb.77:
	v_add_nc_u32_e32 v8, 0xffffff00, v14
	ds_load_b64 v[8:9], v8
	s_wait_dscnt 0x0
	v_pk_add_f32 v[6:7], v[6:7], v[8:9]
.LBB83_78:
	s_or_b32 exec_lo, exec_lo, s2
.LBB83_79:
	;; [unrolled: 24-line block ×4, first 2 shown]
	s_delay_alu instid0(SALU_CYCLE_1)
	s_or_b32 exec_lo, exec_lo, s1
	s_barrier_signal -1
	s_barrier_wait -1
	ds_store_b64 v14, v[6:7]
	s_wait_dscnt 0x0
	s_barrier_signal -1
	s_barrier_wait -1
	s_and_saveexec_b32 s1, s0
	s_cbranch_execz .LBB83_90
; %bb.88:
	ds_load_b64 v[8:9], v1 offset:8
	v_cmp_lt_i64_e64 s0, -1, v[4:5]
	s_wait_dscnt 0x0
	v_cmp_ne_u64_e32 vcc_lo, v[4:5], v[8:9]
	s_and_b32 s0, s0, vcc_lo
	s_delay_alu instid0(SALU_CYCLE_1)
	s_and_b32 exec_lo, exec_lo, s0
	s_cbranch_execz .LBB83_90
; %bb.89:
	v_mul_f32_e64 v1, v7, -v3
	v_mul_f32_e32 v10, v2, v7
	s_wait_kmcnt 0x0
	v_lshl_add_u64 v[8:9], v[4:5], 3, s[16:17]
	s_delay_alu instid0(VALU_DEP_2)
	v_dual_fmac_f32 v1, v2, v6 :: v_dual_fmac_f32 v10, v3, v6
	global_atomic_add_f32 v[8:9], v1, off scope:SCOPE_DEV
	s_wait_xcnt 0x0
	global_atomic_add_f32 v[8:9], v10, off offset:4 scope:SCOPE_DEV
.LBB83_90:
	s_wait_xcnt 0x0
	s_or_b32 exec_lo, exec_lo, s1
	v_cmp_lt_i64_e32 vcc_lo, -1, v[4:5]
	v_cmp_eq_u32_e64 s0, 0xff, v0
	s_and_b32 s0, s0, vcc_lo
	s_delay_alu instid0(SALU_CYCLE_1)
	s_and_b32 exec_lo, exec_lo, s0
	s_cbranch_execz .LBB83_92
; %bb.91:
	v_mul_f32_e64 v8, v7, -v3
	v_mul_f32_e32 v7, v2, v7
	s_wait_kmcnt 0x0
	v_lshl_add_u64 v[0:1], v[4:5], 3, s[16:17]
	s_delay_alu instid0(VALU_DEP_2)
	v_dual_fmac_f32 v8, v2, v6 :: v_dual_fmac_f32 v7, v3, v6
	global_atomic_add_f32 v[0:1], v8, off scope:SCOPE_DEV
	s_wait_xcnt 0x0
	global_atomic_add_f32 v[0:1], v7, off offset:4 scope:SCOPE_DEV
.LBB83_92:
	s_endpgm
	.section	.rodata,"a",@progbits
	.p2align	6, 0x0
	.amdhsa_kernel _ZN9rocsparseL19coomvn_atomic_loopsILj256ELj2Elf21rocsparse_complex_numIfES2_S2_EEvlNS_24const_host_device_scalarIT5_EEPKT1_S8_PKT2_PKT3_PT4_21rocsparse_index_base_b
		.amdhsa_group_segment_fixed_size 4096
		.amdhsa_private_segment_fixed_size 0
		.amdhsa_kernarg_size 64
		.amdhsa_user_sgpr_count 2
		.amdhsa_user_sgpr_dispatch_ptr 0
		.amdhsa_user_sgpr_queue_ptr 0
		.amdhsa_user_sgpr_kernarg_segment_ptr 1
		.amdhsa_user_sgpr_dispatch_id 0
		.amdhsa_user_sgpr_kernarg_preload_length 0
		.amdhsa_user_sgpr_kernarg_preload_offset 0
		.amdhsa_user_sgpr_private_segment_size 0
		.amdhsa_wavefront_size32 1
		.amdhsa_uses_dynamic_stack 0
		.amdhsa_enable_private_segment 0
		.amdhsa_system_sgpr_workgroup_id_x 1
		.amdhsa_system_sgpr_workgroup_id_y 0
		.amdhsa_system_sgpr_workgroup_id_z 0
		.amdhsa_system_sgpr_workgroup_info 0
		.amdhsa_system_vgpr_workitem_id 0
		.amdhsa_next_free_vgpr 26
		.amdhsa_next_free_sgpr 26
		.amdhsa_named_barrier_count 0
		.amdhsa_reserve_vcc 1
		.amdhsa_float_round_mode_32 0
		.amdhsa_float_round_mode_16_64 0
		.amdhsa_float_denorm_mode_32 3
		.amdhsa_float_denorm_mode_16_64 3
		.amdhsa_fp16_overflow 0
		.amdhsa_memory_ordered 1
		.amdhsa_forward_progress 1
		.amdhsa_inst_pref_size 24
		.amdhsa_round_robin_scheduling 0
		.amdhsa_exception_fp_ieee_invalid_op 0
		.amdhsa_exception_fp_denorm_src 0
		.amdhsa_exception_fp_ieee_div_zero 0
		.amdhsa_exception_fp_ieee_overflow 0
		.amdhsa_exception_fp_ieee_underflow 0
		.amdhsa_exception_fp_ieee_inexact 0
		.amdhsa_exception_int_div_zero 0
	.end_amdhsa_kernel
	.section	.text._ZN9rocsparseL19coomvn_atomic_loopsILj256ELj2Elf21rocsparse_complex_numIfES2_S2_EEvlNS_24const_host_device_scalarIT5_EEPKT1_S8_PKT2_PKT3_PT4_21rocsparse_index_base_b,"axG",@progbits,_ZN9rocsparseL19coomvn_atomic_loopsILj256ELj2Elf21rocsparse_complex_numIfES2_S2_EEvlNS_24const_host_device_scalarIT5_EEPKT1_S8_PKT2_PKT3_PT4_21rocsparse_index_base_b,comdat
.Lfunc_end83:
	.size	_ZN9rocsparseL19coomvn_atomic_loopsILj256ELj2Elf21rocsparse_complex_numIfES2_S2_EEvlNS_24const_host_device_scalarIT5_EEPKT1_S8_PKT2_PKT3_PT4_21rocsparse_index_base_b, .Lfunc_end83-_ZN9rocsparseL19coomvn_atomic_loopsILj256ELj2Elf21rocsparse_complex_numIfES2_S2_EEvlNS_24const_host_device_scalarIT5_EEPKT1_S8_PKT2_PKT3_PT4_21rocsparse_index_base_b
                                        ; -- End function
	.set _ZN9rocsparseL19coomvn_atomic_loopsILj256ELj2Elf21rocsparse_complex_numIfES2_S2_EEvlNS_24const_host_device_scalarIT5_EEPKT1_S8_PKT2_PKT3_PT4_21rocsparse_index_base_b.num_vgpr, 26
	.set _ZN9rocsparseL19coomvn_atomic_loopsILj256ELj2Elf21rocsparse_complex_numIfES2_S2_EEvlNS_24const_host_device_scalarIT5_EEPKT1_S8_PKT2_PKT3_PT4_21rocsparse_index_base_b.num_agpr, 0
	.set _ZN9rocsparseL19coomvn_atomic_loopsILj256ELj2Elf21rocsparse_complex_numIfES2_S2_EEvlNS_24const_host_device_scalarIT5_EEPKT1_S8_PKT2_PKT3_PT4_21rocsparse_index_base_b.numbered_sgpr, 26
	.set _ZN9rocsparseL19coomvn_atomic_loopsILj256ELj2Elf21rocsparse_complex_numIfES2_S2_EEvlNS_24const_host_device_scalarIT5_EEPKT1_S8_PKT2_PKT3_PT4_21rocsparse_index_base_b.num_named_barrier, 0
	.set _ZN9rocsparseL19coomvn_atomic_loopsILj256ELj2Elf21rocsparse_complex_numIfES2_S2_EEvlNS_24const_host_device_scalarIT5_EEPKT1_S8_PKT2_PKT3_PT4_21rocsparse_index_base_b.private_seg_size, 0
	.set _ZN9rocsparseL19coomvn_atomic_loopsILj256ELj2Elf21rocsparse_complex_numIfES2_S2_EEvlNS_24const_host_device_scalarIT5_EEPKT1_S8_PKT2_PKT3_PT4_21rocsparse_index_base_b.uses_vcc, 1
	.set _ZN9rocsparseL19coomvn_atomic_loopsILj256ELj2Elf21rocsparse_complex_numIfES2_S2_EEvlNS_24const_host_device_scalarIT5_EEPKT1_S8_PKT2_PKT3_PT4_21rocsparse_index_base_b.uses_flat_scratch, 0
	.set _ZN9rocsparseL19coomvn_atomic_loopsILj256ELj2Elf21rocsparse_complex_numIfES2_S2_EEvlNS_24const_host_device_scalarIT5_EEPKT1_S8_PKT2_PKT3_PT4_21rocsparse_index_base_b.has_dyn_sized_stack, 0
	.set _ZN9rocsparseL19coomvn_atomic_loopsILj256ELj2Elf21rocsparse_complex_numIfES2_S2_EEvlNS_24const_host_device_scalarIT5_EEPKT1_S8_PKT2_PKT3_PT4_21rocsparse_index_base_b.has_recursion, 0
	.set _ZN9rocsparseL19coomvn_atomic_loopsILj256ELj2Elf21rocsparse_complex_numIfES2_S2_EEvlNS_24const_host_device_scalarIT5_EEPKT1_S8_PKT2_PKT3_PT4_21rocsparse_index_base_b.has_indirect_call, 0
	.section	.AMDGPU.csdata,"",@progbits
; Kernel info:
; codeLenInByte = 3064
; TotalNumSgprs: 28
; NumVgprs: 26
; ScratchSize: 0
; MemoryBound: 0
; FloatMode: 240
; IeeeMode: 1
; LDSByteSize: 4096 bytes/workgroup (compile time only)
; SGPRBlocks: 0
; VGPRBlocks: 1
; NumSGPRsForWavesPerEU: 28
; NumVGPRsForWavesPerEU: 26
; NamedBarCnt: 0
; Occupancy: 16
; WaveLimiterHint : 1
; COMPUTE_PGM_RSRC2:SCRATCH_EN: 0
; COMPUTE_PGM_RSRC2:USER_SGPR: 2
; COMPUTE_PGM_RSRC2:TRAP_HANDLER: 0
; COMPUTE_PGM_RSRC2:TGID_X_EN: 1
; COMPUTE_PGM_RSRC2:TGID_Y_EN: 0
; COMPUTE_PGM_RSRC2:TGID_Z_EN: 0
; COMPUTE_PGM_RSRC2:TIDIG_COMP_CNT: 0
	.section	.text._ZN9rocsparseL22coomvn_segmented_loopsILj256Eid21rocsparse_complex_numIdES2_S2_EEvlT0_NS_24const_host_device_scalarIT4_EEPKS3_S8_PKT1_PKT2_PT3_PS3_PS5_21rocsparse_index_base_b,"axG",@progbits,_ZN9rocsparseL22coomvn_segmented_loopsILj256Eid21rocsparse_complex_numIdES2_S2_EEvlT0_NS_24const_host_device_scalarIT4_EEPKS3_S8_PKT1_PKT2_PT3_PS3_PS5_21rocsparse_index_base_b,comdat
	.globl	_ZN9rocsparseL22coomvn_segmented_loopsILj256Eid21rocsparse_complex_numIdES2_S2_EEvlT0_NS_24const_host_device_scalarIT4_EEPKS3_S8_PKT1_PKT2_PT3_PS3_PS5_21rocsparse_index_base_b ; -- Begin function _ZN9rocsparseL22coomvn_segmented_loopsILj256Eid21rocsparse_complex_numIdES2_S2_EEvlT0_NS_24const_host_device_scalarIT4_EEPKS3_S8_PKT1_PKT2_PT3_PS3_PS5_21rocsparse_index_base_b
	.p2align	8
	.type	_ZN9rocsparseL22coomvn_segmented_loopsILj256Eid21rocsparse_complex_numIdES2_S2_EEvlT0_NS_24const_host_device_scalarIT4_EEPKS3_S8_PKT1_PKT2_PT3_PS3_PS5_21rocsparse_index_base_b,@function
_ZN9rocsparseL22coomvn_segmented_loopsILj256Eid21rocsparse_complex_numIdES2_S2_EEvlT0_NS_24const_host_device_scalarIT4_EEPKS3_S8_PKT1_PKT2_PT3_PS3_PS5_21rocsparse_index_base_b: ; @_ZN9rocsparseL22coomvn_segmented_loopsILj256Eid21rocsparse_complex_numIdES2_S2_EEvlT0_NS_24const_host_device_scalarIT4_EEPKS3_S8_PKT1_PKT2_PT3_PS3_PS5_21rocsparse_index_base_b
; %bb.0:
	s_clause 0x1
	s_load_b64 s[28:29], s[0:1], 0x58
	s_load_b64 s[2:3], s[0:1], 0x10
	v_mov_b32_e32 v11, 0
	s_add_nc_u64 s[4:5], s[0:1], 16
	s_wait_kmcnt 0x0
	s_bitcmp1_b32 s29, 0
	s_cselect_b32 s3, s5, s3
	s_cselect_b32 s2, s4, s2
	flat_load_b128 v[2:5], v11, s[2:3]
	s_wait_loadcnt_dscnt 0x0
	v_cmp_neq_f64_e32 vcc_lo, 0, v[2:3]
	v_cmp_neq_f64_e64 s2, 0, v[4:5]
	s_or_b32 s2, vcc_lo, s2
	s_delay_alu instid0(SALU_CYCLE_1)
	s_and_saveexec_b32 s3, s2
	s_cbranch_execz .LBB84_87
; %bb.1:
	s_clause 0x1
	s_load_b96 s[24:26], s[0:1], 0x0
	s_load_b256 s[16:23], s[0:1], 0x20
	s_bfe_u32 s2, ttmp6, 0x4000c
	s_and_b32 s3, ttmp6, 15
	s_add_co_i32 s2, s2, 1
	s_getreg_b32 s4, hwreg(HW_REG_IB_STS2, 6, 4)
	s_mul_i32 s2, ttmp9, s2
	v_mov_b64_e32 v[6:7], 0
	s_add_co_i32 s3, s3, s2
	s_cmp_eq_u32 s4, 0
	v_mov_b32_e32 v20, -1
	s_cselect_b32 s27, ttmp9, s3
	s_delay_alu instid0(VALU_DEP_2) | instskip(SKIP_2) | instid1(SALU_CYCLE_1)
	v_mov_b64_e32 v[8:9], v[6:7]
	s_wait_kmcnt 0x0
	s_mul_i32 s2, s27, s26
	v_lshl_or_b32 v10, s2, 8, v0
	s_mov_b32 s2, exec_lo
	s_delay_alu instid0(VALU_DEP_1)
	v_lshl_add_u64 v[14:15], v[10:11], 3, s[20:21]
	v_cmpx_gt_i64_e64 s[24:25], v[10:11]
	s_cbranch_execz .LBB84_3
; %bb.2:
	v_lshlrev_b64_e32 v[6:7], 2, v[10:11]
	s_ashr_i32 s29, s28, 31
	s_delay_alu instid0(SALU_CYCLE_1) | instskip(NEXT) | instid1(VALU_DEP_1)
	s_lshl_b64 s[4:5], s[28:29], 4
	v_add_nc_u64_e32 v[8:9], s[18:19], v[6:7]
	v_add_nc_u64_e32 v[6:7], s[16:17], v[6:7]
	global_load_b32 v8, v[8:9], off th:TH_LOAD_NT
	s_wait_loadcnt 0x0
	v_ashrrev_i32_e32 v9, 31, v8
	s_delay_alu instid0(VALU_DEP_1) | instskip(NEXT) | instid1(VALU_DEP_1)
	v_lshl_add_u64 v[8:9], v[8:9], 4, s[22:23]
	v_sub_nc_u64_e64 v[8:9], v[8:9], s[4:5]
	global_load_b128 v[16:19], v[8:9], off
	global_load_b64 v[12:13], v[14:15], off th:TH_LOAD_NT
	global_load_b32 v1, v[6:7], off th:TH_LOAD_NT
	s_wait_loadcnt 0x2
	s_wait_xcnt 0x0
	v_mul_f64_e32 v[6:7], 0x80000000, v[18:19]
	s_wait_loadcnt 0x1
	v_mul_f64_e32 v[8:9], v[12:13], v[18:19]
	s_wait_loadcnt 0x0
	v_subrev_nc_u32_e32 v20, s28, v1
	s_delay_alu instid0(VALU_DEP_3) | instskip(NEXT) | instid1(VALU_DEP_3)
	v_fmac_f64_e32 v[6:7], v[12:13], v[16:17]
	v_fmac_f64_e32 v[8:9], 0, v[16:17]
.LBB84_3:
	s_or_b32 exec_lo, exec_lo, s2
	v_dual_lshlrev_b32 v12, 2, v0 :: v_dual_lshlrev_b32 v1, 4, v0
	v_cmp_eq_u32_e64 s2, 0, v0
	v_cmp_ne_u32_e64 s3, 0, v0
	ds_store_b32 v12, v20 offset:4096
	ds_store_b128 v1, v[6:9]
	v_or_b32_e32 v18, 0x1000, v12
	s_wait_dscnt 0x0
	s_barrier_signal -1
	s_barrier_wait -1
	s_delay_alu instid0(VALU_DEP_1)
	v_add_nc_u32_e32 v19, -4, v18
	s_and_saveexec_b32 s4, s3
	s_cbranch_execz .LBB84_7
; %bb.4:
	ds_load_b32 v12, v19
	s_mov_b32 s5, exec_lo
	s_wait_dscnt 0x0
	v_cmpx_eq_u32_e64 v20, v12
	s_cbranch_execz .LBB84_6
; %bb.5:
	v_add_nc_u32_e32 v12, -16, v1
	ds_load_b128 v[22:25], v12
	s_wait_dscnt 0x0
	v_add_f64_e32 v[6:7], v[6:7], v[22:23]
	v_add_f64_e32 v[8:9], v[8:9], v[24:25]
.LBB84_6:
	s_or_b32 exec_lo, exec_lo, s5
.LBB84_7:
	s_delay_alu instid0(SALU_CYCLE_1)
	s_or_b32 exec_lo, exec_lo, s4
	v_cmp_lt_u32_e64 s4, 1, v0
	v_add_nc_u32_e32 v21, -8, v18
	s_barrier_signal -1
	s_barrier_wait -1
	ds_store_b128 v1, v[6:9]
	s_wait_dscnt 0x0
	s_barrier_signal -1
	s_barrier_wait -1
	s_and_saveexec_b32 s5, s4
	s_cbranch_execz .LBB84_11
; %bb.8:
	ds_load_b32 v12, v21
	s_mov_b32 s6, exec_lo
	s_wait_dscnt 0x0
	v_cmpx_eq_u32_e64 v20, v12
	s_cbranch_execz .LBB84_10
; %bb.9:
	v_subrev_nc_u32_e32 v12, 32, v1
	ds_load_b128 v[22:25], v12
	s_wait_dscnt 0x0
	v_add_f64_e32 v[6:7], v[6:7], v[22:23]
	v_add_f64_e32 v[8:9], v[8:9], v[24:25]
.LBB84_10:
	s_or_b32 exec_lo, exec_lo, s6
.LBB84_11:
	s_delay_alu instid0(SALU_CYCLE_1)
	s_or_b32 exec_lo, exec_lo, s5
	v_cmp_lt_u32_e64 s5, 3, v0
	v_add_nc_u32_e32 v22, -16, v18
	s_barrier_signal -1
	s_barrier_wait -1
	ds_store_b128 v1, v[6:9]
	s_wait_dscnt 0x0
	s_barrier_signal -1
	s_barrier_wait -1
	s_and_saveexec_b32 s6, s5
	s_cbranch_execz .LBB84_15
; %bb.12:
	ds_load_b32 v12, v22
	s_mov_b32 s7, exec_lo
	s_wait_dscnt 0x0
	v_cmpx_eq_u32_e64 v20, v12
	s_cbranch_execz .LBB84_14
; %bb.13:
	v_subrev_nc_u32_e32 v12, 64, v1
	ds_load_b128 v[24:27], v12
	s_wait_dscnt 0x0
	v_add_f64_e32 v[6:7], v[6:7], v[24:25]
	v_add_f64_e32 v[8:9], v[8:9], v[26:27]
.LBB84_14:
	s_or_b32 exec_lo, exec_lo, s7
.LBB84_15:
	s_delay_alu instid0(SALU_CYCLE_1)
	s_or_b32 exec_lo, exec_lo, s6
	v_cmp_lt_u32_e64 s6, 7, v0
	v_subrev_nc_u32_e32 v23, 32, v18
	s_barrier_signal -1
	s_barrier_wait -1
	ds_store_b128 v1, v[6:9]
	s_wait_dscnt 0x0
	s_barrier_signal -1
	s_barrier_wait -1
	s_and_saveexec_b32 s7, s6
	s_cbranch_execz .LBB84_19
; %bb.16:
	ds_load_b32 v12, v23
	s_mov_b32 s8, exec_lo
	s_wait_dscnt 0x0
	v_cmpx_eq_u32_e64 v20, v12
	s_cbranch_execz .LBB84_18
; %bb.17:
	v_add_nc_u32_e32 v12, 0xffffff80, v1
	ds_load_b128 v[24:27], v12
	s_wait_dscnt 0x0
	v_add_f64_e32 v[6:7], v[6:7], v[24:25]
	v_add_f64_e32 v[8:9], v[8:9], v[26:27]
.LBB84_18:
	s_or_b32 exec_lo, exec_lo, s8
.LBB84_19:
	s_delay_alu instid0(SALU_CYCLE_1)
	s_or_b32 exec_lo, exec_lo, s7
	v_cmp_lt_u32_e64 s7, 15, v0
	v_subrev_nc_u32_e32 v24, 64, v18
	s_barrier_signal -1
	s_barrier_wait -1
	ds_store_b128 v1, v[6:9]
	s_wait_dscnt 0x0
	s_barrier_signal -1
	s_barrier_wait -1
	s_and_saveexec_b32 s8, s7
	s_cbranch_execz .LBB84_23
; %bb.20:
	ds_load_b32 v12, v24
	s_mov_b32 s9, exec_lo
	s_wait_dscnt 0x0
	v_cmpx_eq_u32_e64 v20, v12
	s_cbranch_execz .LBB84_22
; %bb.21:
	v_add_nc_u32_e32 v12, 0xffffff00, v1
	ds_load_b128 v[26:29], v12
	s_wait_dscnt 0x0
	v_add_f64_e32 v[6:7], v[6:7], v[26:27]
	v_add_f64_e32 v[8:9], v[8:9], v[28:29]
.LBB84_22:
	s_or_b32 exec_lo, exec_lo, s9
.LBB84_23:
	s_delay_alu instid0(SALU_CYCLE_1)
	s_or_b32 exec_lo, exec_lo, s8
	v_cmp_lt_u32_e64 s8, 31, v0
	v_add_nc_u32_e32 v25, 0xffffff80, v18
	s_barrier_signal -1
	s_barrier_wait -1
	ds_store_b128 v1, v[6:9]
	s_wait_dscnt 0x0
	s_barrier_signal -1
	s_barrier_wait -1
	s_and_saveexec_b32 s9, s8
	s_cbranch_execz .LBB84_27
; %bb.24:
	ds_load_b32 v12, v25
	s_mov_b32 s10, exec_lo
	s_wait_dscnt 0x0
	v_cmpx_eq_u32_e64 v20, v12
	s_cbranch_execz .LBB84_26
; %bb.25:
	v_add_nc_u32_e32 v12, 0xfffffe00, v1
	ds_load_b128 v[26:29], v12
	s_wait_dscnt 0x0
	v_add_f64_e32 v[6:7], v[6:7], v[26:27]
	v_add_f64_e32 v[8:9], v[8:9], v[28:29]
.LBB84_26:
	s_or_b32 exec_lo, exec_lo, s10
.LBB84_27:
	s_delay_alu instid0(SALU_CYCLE_1)
	s_or_b32 exec_lo, exec_lo, s9
	v_cmp_lt_u32_e64 s9, 63, v0
	v_add_nc_u32_e32 v26, 0xffffff00, v18
	s_barrier_signal -1
	s_barrier_wait -1
	ds_store_b128 v1, v[6:9]
	s_wait_dscnt 0x0
	s_barrier_signal -1
	s_barrier_wait -1
	s_and_saveexec_b32 s10, s9
	s_cbranch_execz .LBB84_31
; %bb.28:
	ds_load_b32 v12, v26
	s_mov_b32 s11, exec_lo
	s_wait_dscnt 0x0
	v_cmpx_eq_u32_e64 v20, v12
	s_cbranch_execz .LBB84_30
; %bb.29:
	v_add_nc_u32_e32 v12, 0xfffffc00, v1
	ds_load_b128 v[28:31], v12
	s_wait_dscnt 0x0
	v_add_f64_e32 v[6:7], v[6:7], v[28:29]
	v_add_f64_e32 v[8:9], v[8:9], v[30:31]
.LBB84_30:
	s_or_b32 exec_lo, exec_lo, s11
.LBB84_31:
	s_delay_alu instid0(SALU_CYCLE_1)
	s_or_b32 exec_lo, exec_lo, s10
	s_load_b64 s[20:21], s[0:1], 0x40
	v_cmp_lt_u32_e64 s10, 0x7f, v0
	v_add_nc_u32_e32 v27, 0xfffffe00, v18
	s_barrier_signal -1
	s_barrier_wait -1
	ds_store_b128 v1, v[6:9]
	s_wait_dscnt 0x0
	s_barrier_signal -1
	s_barrier_wait -1
	s_and_saveexec_b32 s11, s10
	s_cbranch_execz .LBB84_35
; %bb.32:
	ds_load_b32 v12, v27
	s_mov_b32 s12, exec_lo
	s_wait_dscnt 0x0
	v_cmpx_eq_u32_e64 v20, v12
	s_cbranch_execz .LBB84_34
; %bb.33:
	v_add_nc_u32_e32 v12, 0xfffff800, v1
	ds_load_b128 v[28:31], v12
	s_wait_dscnt 0x0
	v_add_f64_e32 v[6:7], v[6:7], v[28:29]
	v_add_f64_e32 v[8:9], v[8:9], v[30:31]
.LBB84_34:
	s_or_b32 exec_lo, exec_lo, s12
.LBB84_35:
	s_delay_alu instid0(SALU_CYCLE_1)
	s_or_b32 exec_lo, exec_lo, s11
	v_cmp_gt_u32_e64 s11, 0xff, v0
	s_barrier_signal -1
	s_barrier_wait -1
	ds_store_b128 v1, v[6:9]
	s_wait_dscnt 0x0
	s_barrier_signal -1
	s_barrier_wait -1
	s_and_saveexec_b32 s13, s11
	s_cbranch_execz .LBB84_38
; %bb.36:
	ds_load_b32 v12, v18 offset:4
	v_cmp_lt_i32_e64 s12, -1, v20
	s_wait_dscnt 0x0
	v_cmp_ne_u32_e32 vcc_lo, v20, v12
	s_and_b32 s12, s12, vcc_lo
	s_delay_alu instid0(SALU_CYCLE_1)
	s_and_b32 exec_lo, exec_lo, s12
	s_cbranch_execz .LBB84_38
; %bb.37:
	s_wait_kmcnt 0x0
	global_load_b128 v[28:31], v20, s[20:21] scale_offset
	s_wait_loadcnt 0x0
	v_fmac_f64_e32 v[28:29], v[2:3], v[6:7]
	v_fmac_f64_e32 v[30:31], v[4:5], v[6:7]
	s_delay_alu instid0(VALU_DEP_2) | instskip(NEXT) | instid1(VALU_DEP_2)
	v_fma_f64 v[28:29], -v[4:5], v[8:9], v[28:29]
	v_fmac_f64_e32 v[30:31], v[2:3], v[8:9]
	global_store_b128 v20, v[28:31], s[20:21] scale_offset
.LBB84_38:
	s_wait_xcnt 0x0
	s_or_b32 exec_lo, exec_lo, s13
	s_load_b128 s[12:15], s[0:1], 0x48
	s_cmp_lt_i32 s26, 2
	s_cbranch_scc1 .LBB84_85
; %bb.39:
	v_lshl_add_u64 v[6:7], v[10:11], 2, 0x400
	v_add_nc_u64_e32 v[14:15], 0x800, v[14:15]
	v_add_nc_u64_e32 v[10:11], 0x100, v[10:11]
	s_ashr_i32 s29, s28, 31
	v_dual_add_nc_u32 v28, -16, v1 :: v_dual_mov_b32 v36, 0
	v_add_nc_u64_e32 v[12:13], s[18:19], v[6:7]
	v_add_nc_u64_e32 v[16:17], s[16:17], v[6:7]
	v_subrev_nc_u32_e32 v29, 32, v1
	v_subrev_nc_u32_e32 v30, 64, v1
	v_add_nc_u32_e32 v31, 0xffffff80, v1
	v_add_nc_u32_e32 v32, 0xffffff00, v1
	;; [unrolled: 1-line block ×5, first 2 shown]
	s_wait_xcnt 0x0
	s_lshl_b64 s[0:1], s[28:29], 4
	s_delay_alu instid0(SALU_CYCLE_1)
	s_sub_nc_u64 s[16:17], s[22:23], s[0:1]
	s_add_co_i32 s1, s26, -1
	s_branch .LBB84_41
.LBB84_40:                              ;   in Loop: Header=BB84_41 Depth=1
	s_wait_xcnt 0x0
	s_or_b32 exec_lo, exec_lo, s18
	v_add_nc_u64_e32 v[12:13], 0x400, v[12:13]
	v_add_nc_u64_e32 v[14:15], 0x800, v[14:15]
	;; [unrolled: 1-line block ×4, first 2 shown]
	s_add_co_i32 s1, s1, -1
	s_delay_alu instid0(SALU_CYCLE_1)
	s_cmp_eq_u32 s1, 0
	s_cbranch_scc1 .LBB84_85
.LBB84_41:                              ; =>This Inner Loop Header: Depth=1
	v_mov_b64_e32 v[6:7], 0
	v_mov_b64_e32 v[8:9], 0
	v_mov_b32_e32 v20, -1
	s_mov_b32 s0, exec_lo
	v_cmpx_gt_i64_e64 s[24:25], v[10:11]
	s_cbranch_execz .LBB84_43
; %bb.42:                               ;   in Loop: Header=BB84_41 Depth=1
	global_load_b32 v6, v[12:13], off th:TH_LOAD_NT
	s_wait_loadcnt 0x0
	global_load_b128 v[38:41], v6, s[16:17] scale_offset
	global_load_b64 v[42:43], v[14:15], off th:TH_LOAD_NT
	global_load_b32 v20, v[16:17], off th:TH_LOAD_NT
	s_wait_loadcnt 0x2
	s_wait_xcnt 0x2
	v_mul_f64_e32 v[6:7], 0x80000000, v[40:41]
	s_wait_loadcnt 0x1
	v_mul_f64_e32 v[8:9], v[42:43], v[40:41]
	s_wait_loadcnt 0x0
	v_subrev_nc_u32_e32 v20, s28, v20
	s_delay_alu instid0(VALU_DEP_3) | instskip(NEXT) | instid1(VALU_DEP_3)
	v_fmac_f64_e32 v[6:7], v[42:43], v[38:39]
	v_fmac_f64_e32 v[8:9], 0, v[38:39]
.LBB84_43:                              ;   in Loop: Header=BB84_41 Depth=1
	s_wait_xcnt 0x0
	s_or_b32 exec_lo, exec_lo, s0
	s_and_saveexec_b32 s0, s2
	s_cbranch_execz .LBB84_50
; %bb.44:                               ;   in Loop: Header=BB84_41 Depth=1
	ds_load_b32 v37, v36 offset:5116
	s_mov_b32 s18, exec_lo
	s_wait_dscnt 0x0
	v_cmpx_ne_u32_e64 v20, v37
	s_xor_b32 s18, exec_lo, s18
	s_cbranch_execz .LBB84_47
; %bb.45:                               ;   in Loop: Header=BB84_41 Depth=1
	v_cmp_gt_i32_e32 vcc_lo, 0, v37
	s_cbranch_vccnz .LBB84_47
; %bb.46:                               ;   in Loop: Header=BB84_41 Depth=1
	s_wait_kmcnt 0x0
	global_load_b128 v[38:41], v37, s[20:21] scale_offset
	ds_load_b128 v[42:45], v36 offset:4080
	s_wait_loadcnt_dscnt 0x0
	v_fmac_f64_e32 v[38:39], v[2:3], v[42:43]
	v_fmac_f64_e32 v[40:41], v[4:5], v[42:43]
	s_delay_alu instid0(VALU_DEP_2) | instskip(NEXT) | instid1(VALU_DEP_2)
	v_fma_f64 v[38:39], -v[4:5], v[44:45], v[38:39]
	v_fmac_f64_e32 v[40:41], v[2:3], v[44:45]
	global_store_b128 v37, v[38:41], s[20:21] scale_offset
.LBB84_47:                              ;   in Loop: Header=BB84_41 Depth=1
	s_wait_xcnt 0x0
	s_and_not1_saveexec_b32 s18, s18
	s_cbranch_execz .LBB84_49
; %bb.48:                               ;   in Loop: Header=BB84_41 Depth=1
	ds_load_b128 v[38:41], v36 offset:4080
	s_wait_dscnt 0x0
	v_add_f64_e32 v[6:7], v[6:7], v[38:39]
	v_add_f64_e32 v[8:9], v[8:9], v[40:41]
.LBB84_49:                              ;   in Loop: Header=BB84_41 Depth=1
	s_or_b32 exec_lo, exec_lo, s18
.LBB84_50:                              ;   in Loop: Header=BB84_41 Depth=1
	s_delay_alu instid0(SALU_CYCLE_1)
	s_or_b32 exec_lo, exec_lo, s0
	s_wait_storecnt 0x0
	s_barrier_signal -1
	s_barrier_wait -1
	ds_store_b32 v18, v20
	ds_store_b128 v1, v[6:9]
	s_wait_dscnt 0x0
	s_barrier_signal -1
	s_barrier_wait -1
	s_and_saveexec_b32 s0, s3
	s_cbranch_execz .LBB84_54
; %bb.51:                               ;   in Loop: Header=BB84_41 Depth=1
	ds_load_b32 v37, v19
	s_mov_b32 s18, exec_lo
	s_wait_dscnt 0x0
	v_cmpx_eq_u32_e64 v20, v37
	s_cbranch_execz .LBB84_53
; %bb.52:                               ;   in Loop: Header=BB84_41 Depth=1
	ds_load_b128 v[38:41], v28
	s_wait_dscnt 0x0
	v_add_f64_e32 v[6:7], v[6:7], v[38:39]
	v_add_f64_e32 v[8:9], v[8:9], v[40:41]
.LBB84_53:                              ;   in Loop: Header=BB84_41 Depth=1
	s_or_b32 exec_lo, exec_lo, s18
.LBB84_54:                              ;   in Loop: Header=BB84_41 Depth=1
	s_delay_alu instid0(SALU_CYCLE_1)
	s_or_b32 exec_lo, exec_lo, s0
	s_barrier_signal -1
	s_barrier_wait -1
	ds_store_b128 v1, v[6:9]
	s_wait_dscnt 0x0
	s_barrier_signal -1
	s_barrier_wait -1
	s_and_saveexec_b32 s0, s4
	s_cbranch_execz .LBB84_58
; %bb.55:                               ;   in Loop: Header=BB84_41 Depth=1
	ds_load_b32 v37, v21
	s_mov_b32 s18, exec_lo
	s_wait_dscnt 0x0
	v_cmpx_eq_u32_e64 v20, v37
	s_cbranch_execz .LBB84_57
; %bb.56:                               ;   in Loop: Header=BB84_41 Depth=1
	ds_load_b128 v[38:41], v29
	s_wait_dscnt 0x0
	v_add_f64_e32 v[6:7], v[6:7], v[38:39]
	v_add_f64_e32 v[8:9], v[8:9], v[40:41]
.LBB84_57:                              ;   in Loop: Header=BB84_41 Depth=1
	s_or_b32 exec_lo, exec_lo, s18
.LBB84_58:                              ;   in Loop: Header=BB84_41 Depth=1
	s_delay_alu instid0(SALU_CYCLE_1)
	s_or_b32 exec_lo, exec_lo, s0
	s_barrier_signal -1
	s_barrier_wait -1
	;; [unrolled: 24-line block ×8, first 2 shown]
	ds_store_b128 v1, v[6:9]
	s_wait_dscnt 0x0
	s_barrier_signal -1
	s_barrier_wait -1
	s_and_saveexec_b32 s18, s11
	s_cbranch_execz .LBB84_40
; %bb.83:                               ;   in Loop: Header=BB84_41 Depth=1
	ds_load_b32 v37, v18 offset:4
	v_cmp_lt_i32_e64 s0, -1, v20
	s_wait_dscnt 0x0
	v_cmp_ne_u32_e32 vcc_lo, v20, v37
	s_and_b32 s0, s0, vcc_lo
	s_delay_alu instid0(SALU_CYCLE_1)
	s_and_b32 exec_lo, exec_lo, s0
	s_cbranch_execz .LBB84_40
; %bb.84:                               ;   in Loop: Header=BB84_41 Depth=1
	s_wait_kmcnt 0x0
	global_load_b128 v[38:41], v20, s[20:21] scale_offset
	s_wait_loadcnt 0x0
	v_fmac_f64_e32 v[38:39], v[2:3], v[6:7]
	v_fmac_f64_e32 v[40:41], v[4:5], v[6:7]
	s_delay_alu instid0(VALU_DEP_2) | instskip(NEXT) | instid1(VALU_DEP_2)
	v_fma_f64 v[38:39], -v[4:5], v[8:9], v[38:39]
	v_fmac_f64_e32 v[40:41], v[2:3], v[8:9]
	global_store_b128 v20, v[38:41], s[20:21] scale_offset
	s_branch .LBB84_40
.LBB84_85:
	v_cmp_eq_u32_e32 vcc_lo, 0xff, v0
	s_and_b32 exec_lo, exec_lo, vcc_lo
	s_cbranch_execz .LBB84_87
; %bb.86:
	v_dual_mul_f64 v[10:11], v[8:9], -v[4:5] :: v_dual_mov_b32 v0, s27
	v_mul_f64_e32 v[12:13], v[2:3], v[8:9]
	s_delay_alu instid0(VALU_DEP_2) | instskip(NEXT) | instid1(VALU_DEP_2)
	v_fmac_f64_e32 v[10:11], v[2:3], v[6:7]
	v_fmac_f64_e32 v[12:13], v[4:5], v[6:7]
	s_wait_kmcnt 0x0
	s_clause 0x1
	global_store_b32 v0, v20, s[12:13] scale_offset th:TH_STORE_NT
	global_store_b128 v0, v[10:13], s[14:15] scale_offset th:TH_STORE_NT
.LBB84_87:
	s_endpgm
	.section	.rodata,"a",@progbits
	.p2align	6, 0x0
	.amdhsa_kernel _ZN9rocsparseL22coomvn_segmented_loopsILj256Eid21rocsparse_complex_numIdES2_S2_EEvlT0_NS_24const_host_device_scalarIT4_EEPKS3_S8_PKT1_PKT2_PT3_PS3_PS5_21rocsparse_index_base_b
		.amdhsa_group_segment_fixed_size 5120
		.amdhsa_private_segment_fixed_size 0
		.amdhsa_kernarg_size 96
		.amdhsa_user_sgpr_count 2
		.amdhsa_user_sgpr_dispatch_ptr 0
		.amdhsa_user_sgpr_queue_ptr 0
		.amdhsa_user_sgpr_kernarg_segment_ptr 1
		.amdhsa_user_sgpr_dispatch_id 0
		.amdhsa_user_sgpr_kernarg_preload_length 0
		.amdhsa_user_sgpr_kernarg_preload_offset 0
		.amdhsa_user_sgpr_private_segment_size 0
		.amdhsa_wavefront_size32 1
		.amdhsa_uses_dynamic_stack 0
		.amdhsa_enable_private_segment 0
		.amdhsa_system_sgpr_workgroup_id_x 1
		.amdhsa_system_sgpr_workgroup_id_y 0
		.amdhsa_system_sgpr_workgroup_id_z 0
		.amdhsa_system_sgpr_workgroup_info 0
		.amdhsa_system_vgpr_workitem_id 0
		.amdhsa_next_free_vgpr 46
		.amdhsa_next_free_sgpr 30
		.amdhsa_named_barrier_count 0
		.amdhsa_reserve_vcc 1
		.amdhsa_float_round_mode_32 0
		.amdhsa_float_round_mode_16_64 0
		.amdhsa_float_denorm_mode_32 3
		.amdhsa_float_denorm_mode_16_64 3
		.amdhsa_fp16_overflow 0
		.amdhsa_memory_ordered 1
		.amdhsa_forward_progress 1
		.amdhsa_inst_pref_size 24
		.amdhsa_round_robin_scheduling 0
		.amdhsa_exception_fp_ieee_invalid_op 0
		.amdhsa_exception_fp_denorm_src 0
		.amdhsa_exception_fp_ieee_div_zero 0
		.amdhsa_exception_fp_ieee_overflow 0
		.amdhsa_exception_fp_ieee_underflow 0
		.amdhsa_exception_fp_ieee_inexact 0
		.amdhsa_exception_int_div_zero 0
	.end_amdhsa_kernel
	.section	.text._ZN9rocsparseL22coomvn_segmented_loopsILj256Eid21rocsparse_complex_numIdES2_S2_EEvlT0_NS_24const_host_device_scalarIT4_EEPKS3_S8_PKT1_PKT2_PT3_PS3_PS5_21rocsparse_index_base_b,"axG",@progbits,_ZN9rocsparseL22coomvn_segmented_loopsILj256Eid21rocsparse_complex_numIdES2_S2_EEvlT0_NS_24const_host_device_scalarIT4_EEPKS3_S8_PKT1_PKT2_PT3_PS3_PS5_21rocsparse_index_base_b,comdat
.Lfunc_end84:
	.size	_ZN9rocsparseL22coomvn_segmented_loopsILj256Eid21rocsparse_complex_numIdES2_S2_EEvlT0_NS_24const_host_device_scalarIT4_EEPKS3_S8_PKT1_PKT2_PT3_PS3_PS5_21rocsparse_index_base_b, .Lfunc_end84-_ZN9rocsparseL22coomvn_segmented_loopsILj256Eid21rocsparse_complex_numIdES2_S2_EEvlT0_NS_24const_host_device_scalarIT4_EEPKS3_S8_PKT1_PKT2_PT3_PS3_PS5_21rocsparse_index_base_b
                                        ; -- End function
	.set _ZN9rocsparseL22coomvn_segmented_loopsILj256Eid21rocsparse_complex_numIdES2_S2_EEvlT0_NS_24const_host_device_scalarIT4_EEPKS3_S8_PKT1_PKT2_PT3_PS3_PS5_21rocsparse_index_base_b.num_vgpr, 46
	.set _ZN9rocsparseL22coomvn_segmented_loopsILj256Eid21rocsparse_complex_numIdES2_S2_EEvlT0_NS_24const_host_device_scalarIT4_EEPKS3_S8_PKT1_PKT2_PT3_PS3_PS5_21rocsparse_index_base_b.num_agpr, 0
	.set _ZN9rocsparseL22coomvn_segmented_loopsILj256Eid21rocsparse_complex_numIdES2_S2_EEvlT0_NS_24const_host_device_scalarIT4_EEPKS3_S8_PKT1_PKT2_PT3_PS3_PS5_21rocsparse_index_base_b.numbered_sgpr, 30
	.set _ZN9rocsparseL22coomvn_segmented_loopsILj256Eid21rocsparse_complex_numIdES2_S2_EEvlT0_NS_24const_host_device_scalarIT4_EEPKS3_S8_PKT1_PKT2_PT3_PS3_PS5_21rocsparse_index_base_b.num_named_barrier, 0
	.set _ZN9rocsparseL22coomvn_segmented_loopsILj256Eid21rocsparse_complex_numIdES2_S2_EEvlT0_NS_24const_host_device_scalarIT4_EEPKS3_S8_PKT1_PKT2_PT3_PS3_PS5_21rocsparse_index_base_b.private_seg_size, 0
	.set _ZN9rocsparseL22coomvn_segmented_loopsILj256Eid21rocsparse_complex_numIdES2_S2_EEvlT0_NS_24const_host_device_scalarIT4_EEPKS3_S8_PKT1_PKT2_PT3_PS3_PS5_21rocsparse_index_base_b.uses_vcc, 1
	.set _ZN9rocsparseL22coomvn_segmented_loopsILj256Eid21rocsparse_complex_numIdES2_S2_EEvlT0_NS_24const_host_device_scalarIT4_EEPKS3_S8_PKT1_PKT2_PT3_PS3_PS5_21rocsparse_index_base_b.uses_flat_scratch, 0
	.set _ZN9rocsparseL22coomvn_segmented_loopsILj256Eid21rocsparse_complex_numIdES2_S2_EEvlT0_NS_24const_host_device_scalarIT4_EEPKS3_S8_PKT1_PKT2_PT3_PS3_PS5_21rocsparse_index_base_b.has_dyn_sized_stack, 0
	.set _ZN9rocsparseL22coomvn_segmented_loopsILj256Eid21rocsparse_complex_numIdES2_S2_EEvlT0_NS_24const_host_device_scalarIT4_EEPKS3_S8_PKT1_PKT2_PT3_PS3_PS5_21rocsparse_index_base_b.has_recursion, 0
	.set _ZN9rocsparseL22coomvn_segmented_loopsILj256Eid21rocsparse_complex_numIdES2_S2_EEvlT0_NS_24const_host_device_scalarIT4_EEPKS3_S8_PKT1_PKT2_PT3_PS3_PS5_21rocsparse_index_base_b.has_indirect_call, 0
	.section	.AMDGPU.csdata,"",@progbits
; Kernel info:
; codeLenInByte = 2956
; TotalNumSgprs: 32
; NumVgprs: 46
; ScratchSize: 0
; MemoryBound: 1
; FloatMode: 240
; IeeeMode: 1
; LDSByteSize: 5120 bytes/workgroup (compile time only)
; SGPRBlocks: 0
; VGPRBlocks: 2
; NumSGPRsForWavesPerEU: 32
; NumVGPRsForWavesPerEU: 46
; NamedBarCnt: 0
; Occupancy: 16
; WaveLimiterHint : 1
; COMPUTE_PGM_RSRC2:SCRATCH_EN: 0
; COMPUTE_PGM_RSRC2:USER_SGPR: 2
; COMPUTE_PGM_RSRC2:TRAP_HANDLER: 0
; COMPUTE_PGM_RSRC2:TGID_X_EN: 1
; COMPUTE_PGM_RSRC2:TGID_Y_EN: 0
; COMPUTE_PGM_RSRC2:TGID_Z_EN: 0
; COMPUTE_PGM_RSRC2:TIDIG_COMP_CNT: 0
	.section	.text._ZN9rocsparseL13coomvt_kernelILj1024Eid21rocsparse_complex_numIdES2_S2_EEv20rocsparse_operation_lNS_24const_host_device_scalarIT4_EEPKT0_S9_PKT1_PKT2_PT3_21rocsparse_index_base_b,"axG",@progbits,_ZN9rocsparseL13coomvt_kernelILj1024Eid21rocsparse_complex_numIdES2_S2_EEv20rocsparse_operation_lNS_24const_host_device_scalarIT4_EEPKT0_S9_PKT1_PKT2_PT3_21rocsparse_index_base_b,comdat
	.globl	_ZN9rocsparseL13coomvt_kernelILj1024Eid21rocsparse_complex_numIdES2_S2_EEv20rocsparse_operation_lNS_24const_host_device_scalarIT4_EEPKT0_S9_PKT1_PKT2_PT3_21rocsparse_index_base_b ; -- Begin function _ZN9rocsparseL13coomvt_kernelILj1024Eid21rocsparse_complex_numIdES2_S2_EEv20rocsparse_operation_lNS_24const_host_device_scalarIT4_EEPKT0_S9_PKT1_PKT2_PT3_21rocsparse_index_base_b
	.p2align	8
	.type	_ZN9rocsparseL13coomvt_kernelILj1024Eid21rocsparse_complex_numIdES2_S2_EEv20rocsparse_operation_lNS_24const_host_device_scalarIT4_EEPKT0_S9_PKT1_PKT2_PT3_21rocsparse_index_base_b,@function
_ZN9rocsparseL13coomvt_kernelILj1024Eid21rocsparse_complex_numIdES2_S2_EEv20rocsparse_operation_lNS_24const_host_device_scalarIT4_EEPKT0_S9_PKT1_PKT2_PT3_21rocsparse_index_base_b: ; @_ZN9rocsparseL13coomvt_kernelILj1024Eid21rocsparse_complex_numIdES2_S2_EEv20rocsparse_operation_lNS_24const_host_device_scalarIT4_EEPKT0_S9_PKT1_PKT2_PT3_21rocsparse_index_base_b
; %bb.0:
	s_clause 0x1
	s_load_b64 s[8:9], s[0:1], 0x48
	s_load_b128 s[4:7], s[0:1], 0x8
	v_mov_b32_e32 v1, 0
	s_add_nc_u64 s[2:3], s[0:1], 16
	s_wait_kmcnt 0x0
	s_bitcmp1_b32 s9, 0
	s_cselect_b32 s3, s3, s7
	s_cselect_b32 s2, s2, s6
	flat_load_b128 v[2:5], v1, s[2:3]
	s_wait_loadcnt_dscnt 0x0
	v_cmp_neq_f64_e32 vcc_lo, 0, v[2:3]
	v_cmp_neq_f64_e64 s2, 0, v[4:5]
	s_or_b32 s2, vcc_lo, s2
	s_delay_alu instid0(SALU_CYCLE_1)
	s_and_saveexec_b32 s3, s2
	s_cbranch_execz .LBB85_3
; %bb.1:
	s_load_b32 s2, s[0:1], 0x5c
	s_bfe_u32 s3, ttmp6, 0x4000c
	s_and_b32 s6, ttmp6, 15
	s_add_co_i32 s3, s3, 1
	s_getreg_b32 s7, hwreg(HW_REG_IB_STS2, 6, 4)
	s_mul_i32 s3, ttmp9, s3
	s_delay_alu instid0(SALU_CYCLE_1) | instskip(SKIP_4) | instid1(SALU_CYCLE_1)
	s_add_co_i32 s6, s6, s3
	s_wait_kmcnt 0x0
	s_and_b32 s2, s2, 0xffff
	s_cmp_eq_u32 s7, 0
	s_cselect_b32 s3, ttmp9, s6
	v_mad_u32 v0, s3, s2, v0
	s_delay_alu instid0(VALU_DEP_1)
	v_cmp_gt_i64_e32 vcc_lo, s[4:5], v[0:1]
	s_and_b32 exec_lo, exec_lo, vcc_lo
	s_cbranch_execz .LBB85_3
; %bb.2:
	s_load_b256 s[12:19], s[0:1], 0x20
	v_lshlrev_b64_e32 v[10:11], 2, v[0:1]
	v_mul_f64_e32 v[12:13], 0x80000000, v[4:5]
	s_wait_xcnt 0x0
	s_load_b64 s[0:1], s[0:1], 0x40
	s_wait_kmcnt 0x0
	s_delay_alu instid0(VALU_DEP_2)
	v_add_nc_u64_e32 v[6:7], s[12:13], v[10:11]
	v_lshl_add_u64 v[0:1], v[0:1], 3, s[16:17]
	v_add_nc_u64_e32 v[10:11], s[14:15], v[10:11]
	global_load_b64 v[0:1], v[0:1], off
	global_load_b32 v6, v[6:7], off
	global_load_b32 v14, v[10:11], off
	s_wait_xcnt 0x0
	v_mul_f64_e32 v[10:11], 0, v[2:3]
	s_wait_loadcnt 0x2
	s_delay_alu instid0(VALU_DEP_1)
	v_fmac_f64_e32 v[10:11], v[4:5], v[0:1]
	s_wait_loadcnt 0x1
	v_subrev_nc_u32_e32 v6, s8, v6
	v_fmac_f64_e32 v[12:13], v[2:3], v[0:1]
	s_wait_loadcnt 0x0
	v_subrev_nc_u32_e32 v4, s8, v14
	global_load_b128 v[6:9], v6, s[18:19] scale_offset
	v_ashrrev_i32_e32 v5, 31, v4
	s_delay_alu instid0(VALU_DEP_1) | instskip(SKIP_3) | instid1(VALU_DEP_2)
	v_lshl_add_u64 v[4:5], v[4:5], 4, s[0:1]
	s_wait_loadcnt 0x0
	v_mul_f64_e64 v[0:1], v[8:9], -v[10:11]
	v_mul_f64_e32 v[2:3], v[12:13], v[8:9]
	v_fmac_f64_e32 v[0:1], v[12:13], v[6:7]
	s_delay_alu instid0(VALU_DEP_2)
	v_fmac_f64_e32 v[2:3], v[10:11], v[6:7]
	global_atomic_add_f64 v[4:5], v[0:1], off scope:SCOPE_DEV
	s_wait_xcnt 0x0
	global_atomic_add_f64 v[4:5], v[2:3], off offset:8 scope:SCOPE_DEV
.LBB85_3:
	s_endpgm
	.section	.rodata,"a",@progbits
	.p2align	6, 0x0
	.amdhsa_kernel _ZN9rocsparseL13coomvt_kernelILj1024Eid21rocsparse_complex_numIdES2_S2_EEv20rocsparse_operation_lNS_24const_host_device_scalarIT4_EEPKT0_S9_PKT1_PKT2_PT3_21rocsparse_index_base_b
		.amdhsa_group_segment_fixed_size 0
		.amdhsa_private_segment_fixed_size 0
		.amdhsa_kernarg_size 336
		.amdhsa_user_sgpr_count 2
		.amdhsa_user_sgpr_dispatch_ptr 0
		.amdhsa_user_sgpr_queue_ptr 0
		.amdhsa_user_sgpr_kernarg_segment_ptr 1
		.amdhsa_user_sgpr_dispatch_id 0
		.amdhsa_user_sgpr_kernarg_preload_length 0
		.amdhsa_user_sgpr_kernarg_preload_offset 0
		.amdhsa_user_sgpr_private_segment_size 0
		.amdhsa_wavefront_size32 1
		.amdhsa_uses_dynamic_stack 0
		.amdhsa_enable_private_segment 0
		.amdhsa_system_sgpr_workgroup_id_x 1
		.amdhsa_system_sgpr_workgroup_id_y 0
		.amdhsa_system_sgpr_workgroup_id_z 0
		.amdhsa_system_sgpr_workgroup_info 0
		.amdhsa_system_vgpr_workitem_id 0
		.amdhsa_next_free_vgpr 15
		.amdhsa_next_free_sgpr 20
		.amdhsa_named_barrier_count 0
		.amdhsa_reserve_vcc 1
		.amdhsa_float_round_mode_32 0
		.amdhsa_float_round_mode_16_64 0
		.amdhsa_float_denorm_mode_32 3
		.amdhsa_float_denorm_mode_16_64 3
		.amdhsa_fp16_overflow 0
		.amdhsa_memory_ordered 1
		.amdhsa_forward_progress 1
		.amdhsa_inst_pref_size 4
		.amdhsa_round_robin_scheduling 0
		.amdhsa_exception_fp_ieee_invalid_op 0
		.amdhsa_exception_fp_denorm_src 0
		.amdhsa_exception_fp_ieee_div_zero 0
		.amdhsa_exception_fp_ieee_overflow 0
		.amdhsa_exception_fp_ieee_underflow 0
		.amdhsa_exception_fp_ieee_inexact 0
		.amdhsa_exception_int_div_zero 0
	.end_amdhsa_kernel
	.section	.text._ZN9rocsparseL13coomvt_kernelILj1024Eid21rocsparse_complex_numIdES2_S2_EEv20rocsparse_operation_lNS_24const_host_device_scalarIT4_EEPKT0_S9_PKT1_PKT2_PT3_21rocsparse_index_base_b,"axG",@progbits,_ZN9rocsparseL13coomvt_kernelILj1024Eid21rocsparse_complex_numIdES2_S2_EEv20rocsparse_operation_lNS_24const_host_device_scalarIT4_EEPKT0_S9_PKT1_PKT2_PT3_21rocsparse_index_base_b,comdat
.Lfunc_end85:
	.size	_ZN9rocsparseL13coomvt_kernelILj1024Eid21rocsparse_complex_numIdES2_S2_EEv20rocsparse_operation_lNS_24const_host_device_scalarIT4_EEPKT0_S9_PKT1_PKT2_PT3_21rocsparse_index_base_b, .Lfunc_end85-_ZN9rocsparseL13coomvt_kernelILj1024Eid21rocsparse_complex_numIdES2_S2_EEv20rocsparse_operation_lNS_24const_host_device_scalarIT4_EEPKT0_S9_PKT1_PKT2_PT3_21rocsparse_index_base_b
                                        ; -- End function
	.set _ZN9rocsparseL13coomvt_kernelILj1024Eid21rocsparse_complex_numIdES2_S2_EEv20rocsparse_operation_lNS_24const_host_device_scalarIT4_EEPKT0_S9_PKT1_PKT2_PT3_21rocsparse_index_base_b.num_vgpr, 15
	.set _ZN9rocsparseL13coomvt_kernelILj1024Eid21rocsparse_complex_numIdES2_S2_EEv20rocsparse_operation_lNS_24const_host_device_scalarIT4_EEPKT0_S9_PKT1_PKT2_PT3_21rocsparse_index_base_b.num_agpr, 0
	.set _ZN9rocsparseL13coomvt_kernelILj1024Eid21rocsparse_complex_numIdES2_S2_EEv20rocsparse_operation_lNS_24const_host_device_scalarIT4_EEPKT0_S9_PKT1_PKT2_PT3_21rocsparse_index_base_b.numbered_sgpr, 20
	.set _ZN9rocsparseL13coomvt_kernelILj1024Eid21rocsparse_complex_numIdES2_S2_EEv20rocsparse_operation_lNS_24const_host_device_scalarIT4_EEPKT0_S9_PKT1_PKT2_PT3_21rocsparse_index_base_b.num_named_barrier, 0
	.set _ZN9rocsparseL13coomvt_kernelILj1024Eid21rocsparse_complex_numIdES2_S2_EEv20rocsparse_operation_lNS_24const_host_device_scalarIT4_EEPKT0_S9_PKT1_PKT2_PT3_21rocsparse_index_base_b.private_seg_size, 0
	.set _ZN9rocsparseL13coomvt_kernelILj1024Eid21rocsparse_complex_numIdES2_S2_EEv20rocsparse_operation_lNS_24const_host_device_scalarIT4_EEPKT0_S9_PKT1_PKT2_PT3_21rocsparse_index_base_b.uses_vcc, 1
	.set _ZN9rocsparseL13coomvt_kernelILj1024Eid21rocsparse_complex_numIdES2_S2_EEv20rocsparse_operation_lNS_24const_host_device_scalarIT4_EEPKT0_S9_PKT1_PKT2_PT3_21rocsparse_index_base_b.uses_flat_scratch, 0
	.set _ZN9rocsparseL13coomvt_kernelILj1024Eid21rocsparse_complex_numIdES2_S2_EEv20rocsparse_operation_lNS_24const_host_device_scalarIT4_EEPKT0_S9_PKT1_PKT2_PT3_21rocsparse_index_base_b.has_dyn_sized_stack, 0
	.set _ZN9rocsparseL13coomvt_kernelILj1024Eid21rocsparse_complex_numIdES2_S2_EEv20rocsparse_operation_lNS_24const_host_device_scalarIT4_EEPKT0_S9_PKT1_PKT2_PT3_21rocsparse_index_base_b.has_recursion, 0
	.set _ZN9rocsparseL13coomvt_kernelILj1024Eid21rocsparse_complex_numIdES2_S2_EEv20rocsparse_operation_lNS_24const_host_device_scalarIT4_EEPKT0_S9_PKT1_PKT2_PT3_21rocsparse_index_base_b.has_indirect_call, 0
	.section	.AMDGPU.csdata,"",@progbits
; Kernel info:
; codeLenInByte = 392
; TotalNumSgprs: 22
; NumVgprs: 15
; ScratchSize: 0
; MemoryBound: 0
; FloatMode: 240
; IeeeMode: 1
; LDSByteSize: 0 bytes/workgroup (compile time only)
; SGPRBlocks: 0
; VGPRBlocks: 0
; NumSGPRsForWavesPerEU: 22
; NumVGPRsForWavesPerEU: 15
; NamedBarCnt: 0
; Occupancy: 16
; WaveLimiterHint : 1
; COMPUTE_PGM_RSRC2:SCRATCH_EN: 0
; COMPUTE_PGM_RSRC2:USER_SGPR: 2
; COMPUTE_PGM_RSRC2:TRAP_HANDLER: 0
; COMPUTE_PGM_RSRC2:TGID_X_EN: 1
; COMPUTE_PGM_RSRC2:TGID_Y_EN: 0
; COMPUTE_PGM_RSRC2:TGID_Z_EN: 0
; COMPUTE_PGM_RSRC2:TIDIG_COMP_CNT: 0
	.section	.text._ZN9rocsparseL19coomvn_atomic_loopsILj256ELj1Eid21rocsparse_complex_numIdES2_S2_EEvlNS_24const_host_device_scalarIT5_EEPKT1_S8_PKT2_PKT3_PT4_21rocsparse_index_base_b,"axG",@progbits,_ZN9rocsparseL19coomvn_atomic_loopsILj256ELj1Eid21rocsparse_complex_numIdES2_S2_EEvlNS_24const_host_device_scalarIT5_EEPKT1_S8_PKT2_PKT3_PT4_21rocsparse_index_base_b,comdat
	.globl	_ZN9rocsparseL19coomvn_atomic_loopsILj256ELj1Eid21rocsparse_complex_numIdES2_S2_EEvlNS_24const_host_device_scalarIT5_EEPKT1_S8_PKT2_PKT3_PT4_21rocsparse_index_base_b ; -- Begin function _ZN9rocsparseL19coomvn_atomic_loopsILj256ELj1Eid21rocsparse_complex_numIdES2_S2_EEvlNS_24const_host_device_scalarIT5_EEPKT1_S8_PKT2_PKT3_PT4_21rocsparse_index_base_b
	.p2align	8
	.type	_ZN9rocsparseL19coomvn_atomic_loopsILj256ELj1Eid21rocsparse_complex_numIdES2_S2_EEvlNS_24const_host_device_scalarIT5_EEPKT1_S8_PKT2_PKT3_PT4_21rocsparse_index_base_b,@function
_ZN9rocsparseL19coomvn_atomic_loopsILj256ELj1Eid21rocsparse_complex_numIdES2_S2_EEvlNS_24const_host_device_scalarIT5_EEPKT1_S8_PKT2_PKT3_PT4_21rocsparse_index_base_b: ; @_ZN9rocsparseL19coomvn_atomic_loopsILj256ELj1Eid21rocsparse_complex_numIdES2_S2_EEvlNS_24const_host_device_scalarIT5_EEPKT1_S8_PKT2_PKT3_PT4_21rocsparse_index_base_b
; %bb.0:
	s_clause 0x1
	s_load_b64 s[8:9], s[0:1], 0x40
	s_load_b128 s[4:7], s[0:1], 0x0
	v_mov_b32_e32 v13, 0
	s_or_b64 s[2:3], s[0:1], 8
	s_wait_kmcnt 0x0
	s_bitcmp1_b32 s9, 0
	s_cselect_b32 s3, s3, s7
	s_cselect_b32 s2, s2, s6
	flat_load_b128 v[2:5], v13, s[2:3]
	s_wait_loadcnt_dscnt 0x0
	v_cmp_neq_f64_e32 vcc_lo, 0, v[2:3]
	v_cmp_neq_f64_e64 s2, 0, v[4:5]
	s_or_b32 s2, vcc_lo, s2
	s_delay_alu instid0(SALU_CYCLE_1)
	s_and_saveexec_b32 s3, s2
	s_cbranch_execz .LBB86_40
; %bb.1:
	s_bfe_u32 s2, ttmp6, 0x4000c
	v_mov_b64_e32 v[6:7], 0
	s_add_co_i32 s2, s2, 1
	s_and_b32 s3, ttmp6, 15
	s_mul_i32 s2, ttmp9, s2
	s_getreg_b32 s6, hwreg(HW_REG_IB_STS2, 6, 4)
	s_add_co_i32 s3, s3, s2
	s_cmp_eq_u32 s6, 0
	v_mov_b64_e32 v[8:9], v[6:7]
	s_cselect_b32 s2, ttmp9, s3
	v_mov_b32_e32 v10, -1
	v_lshl_or_b32 v12, s2, 8, v0
	s_mov_b32 s2, exec_lo
	s_delay_alu instid0(VALU_DEP_1)
	v_cmpx_gt_i64_e64 s[4:5], v[12:13]
	s_cbranch_execz .LBB86_3
; %bb.2:
	s_load_b256 s[12:19], s[0:1], 0x18
	v_lshlrev_b64_e32 v[6:7], 2, v[12:13]
	s_wait_kmcnt 0x0
	s_delay_alu instid0(VALU_DEP_1)
	v_add_nc_u64_e32 v[8:9], s[14:15], v[6:7]
	v_add_nc_u64_e32 v[6:7], s[12:13], v[6:7]
	global_load_b32 v1, v[8:9], off th:TH_LOAD_NT
	s_wait_xcnt 0x0
	v_lshl_add_u64 v[8:9], v[12:13], 3, s[16:17]
	s_wait_loadcnt 0x0
	v_subrev_nc_u32_e32 v1, s8, v1
	global_load_b128 v[10:13], v1, s[18:19] scale_offset
	global_load_b64 v[14:15], v[8:9], off th:TH_LOAD_NT
	global_load_b32 v1, v[6:7], off th:TH_LOAD_NT
	s_wait_loadcnt 0x2
	s_wait_xcnt 0x0
	v_mul_f64_e32 v[6:7], 0x80000000, v[12:13]
	s_wait_loadcnt 0x1
	v_mul_f64_e32 v[8:9], v[14:15], v[12:13]
	s_delay_alu instid0(VALU_DEP_2) | instskip(NEXT) | instid1(VALU_DEP_2)
	v_fmac_f64_e32 v[6:7], v[14:15], v[10:11]
	v_fmac_f64_e32 v[8:9], 0, v[10:11]
	s_wait_loadcnt 0x0
	v_subrev_nc_u32_e32 v10, s8, v1
.LBB86_3:
	s_or_b32 exec_lo, exec_lo, s2
	v_dual_lshlrev_b32 v12, 2, v0 :: v_dual_lshlrev_b32 v11, 4, v0
	s_mov_b32 s2, exec_lo
	ds_store_b32 v12, v10 offset:4096
	ds_store_b128 v11, v[6:9]
	v_or_b32_e32 v1, 0x1000, v12
	s_wait_dscnt 0x0
	s_barrier_signal -1
	s_barrier_wait -1
	v_cmpx_ne_u32_e32 0, v0
	s_cbranch_execz .LBB86_7
; %bb.4:
	v_add_nc_u32_e32 v12, -4, v1
	s_mov_b32 s3, exec_lo
	ds_load_b32 v12, v12
	s_wait_dscnt 0x0
	v_cmpx_eq_u32_e64 v10, v12
	s_cbranch_execz .LBB86_6
; %bb.5:
	v_add_nc_u32_e32 v12, -16, v11
	ds_load_b128 v[12:15], v12
	s_wait_dscnt 0x0
	v_add_f64_e32 v[6:7], v[6:7], v[12:13]
	v_add_f64_e32 v[8:9], v[8:9], v[14:15]
.LBB86_6:
	s_or_b32 exec_lo, exec_lo, s3
.LBB86_7:
	s_delay_alu instid0(SALU_CYCLE_1) | instskip(NEXT) | instid1(SALU_CYCLE_1)
	s_or_b32 exec_lo, exec_lo, s2
	s_mov_b32 s2, exec_lo
	s_barrier_signal -1
	s_barrier_wait -1
	ds_store_b128 v11, v[6:9]
	s_wait_dscnt 0x0
	s_barrier_signal -1
	s_barrier_wait -1
	v_cmpx_lt_u32_e32 1, v0
	s_cbranch_execz .LBB86_11
; %bb.8:
	v_add_nc_u32_e32 v12, -8, v1
	s_mov_b32 s3, exec_lo
	ds_load_b32 v12, v12
	s_wait_dscnt 0x0
	v_cmpx_eq_u32_e64 v10, v12
	s_cbranch_execz .LBB86_10
; %bb.9:
	v_subrev_nc_u32_e32 v12, 32, v11
	ds_load_b128 v[12:15], v12
	s_wait_dscnt 0x0
	v_add_f64_e32 v[6:7], v[6:7], v[12:13]
	v_add_f64_e32 v[8:9], v[8:9], v[14:15]
.LBB86_10:
	s_or_b32 exec_lo, exec_lo, s3
.LBB86_11:
	s_delay_alu instid0(SALU_CYCLE_1) | instskip(NEXT) | instid1(SALU_CYCLE_1)
	s_or_b32 exec_lo, exec_lo, s2
	s_mov_b32 s2, exec_lo
	s_barrier_signal -1
	s_barrier_wait -1
	ds_store_b128 v11, v[6:9]
	s_wait_dscnt 0x0
	s_barrier_signal -1
	s_barrier_wait -1
	v_cmpx_lt_u32_e32 3, v0
	s_cbranch_execz .LBB86_15
; %bb.12:
	v_add_nc_u32_e32 v12, -16, v1
	s_mov_b32 s3, exec_lo
	ds_load_b32 v12, v12
	s_wait_dscnt 0x0
	v_cmpx_eq_u32_e64 v10, v12
	s_cbranch_execz .LBB86_14
; %bb.13:
	v_subrev_nc_u32_e32 v12, 64, v11
	ds_load_b128 v[12:15], v12
	s_wait_dscnt 0x0
	v_add_f64_e32 v[6:7], v[6:7], v[12:13]
	v_add_f64_e32 v[8:9], v[8:9], v[14:15]
.LBB86_14:
	s_or_b32 exec_lo, exec_lo, s3
.LBB86_15:
	s_delay_alu instid0(SALU_CYCLE_1) | instskip(NEXT) | instid1(SALU_CYCLE_1)
	s_or_b32 exec_lo, exec_lo, s2
	s_mov_b32 s2, exec_lo
	s_barrier_signal -1
	s_barrier_wait -1
	ds_store_b128 v11, v[6:9]
	s_wait_dscnt 0x0
	s_barrier_signal -1
	s_barrier_wait -1
	v_cmpx_lt_u32_e32 7, v0
	s_cbranch_execz .LBB86_19
; %bb.16:
	v_subrev_nc_u32_e32 v12, 32, v1
	s_mov_b32 s3, exec_lo
	ds_load_b32 v12, v12
	s_wait_dscnt 0x0
	v_cmpx_eq_u32_e64 v10, v12
	s_cbranch_execz .LBB86_18
; %bb.17:
	v_add_nc_u32_e32 v12, 0xffffff80, v11
	ds_load_b128 v[12:15], v12
	s_wait_dscnt 0x0
	v_add_f64_e32 v[6:7], v[6:7], v[12:13]
	v_add_f64_e32 v[8:9], v[8:9], v[14:15]
.LBB86_18:
	s_or_b32 exec_lo, exec_lo, s3
.LBB86_19:
	s_delay_alu instid0(SALU_CYCLE_1) | instskip(NEXT) | instid1(SALU_CYCLE_1)
	s_or_b32 exec_lo, exec_lo, s2
	s_mov_b32 s2, exec_lo
	s_barrier_signal -1
	s_barrier_wait -1
	ds_store_b128 v11, v[6:9]
	s_wait_dscnt 0x0
	s_barrier_signal -1
	s_barrier_wait -1
	v_cmpx_lt_u32_e32 15, v0
	s_cbranch_execz .LBB86_23
; %bb.20:
	v_subrev_nc_u32_e32 v12, 64, v1
	s_mov_b32 s3, exec_lo
	ds_load_b32 v12, v12
	s_wait_dscnt 0x0
	v_cmpx_eq_u32_e64 v10, v12
	s_cbranch_execz .LBB86_22
; %bb.21:
	v_add_nc_u32_e32 v12, 0xffffff00, v11
	ds_load_b128 v[12:15], v12
	s_wait_dscnt 0x0
	v_add_f64_e32 v[6:7], v[6:7], v[12:13]
	v_add_f64_e32 v[8:9], v[8:9], v[14:15]
.LBB86_22:
	s_or_b32 exec_lo, exec_lo, s3
.LBB86_23:
	s_delay_alu instid0(SALU_CYCLE_1) | instskip(NEXT) | instid1(SALU_CYCLE_1)
	s_or_b32 exec_lo, exec_lo, s2
	s_mov_b32 s2, exec_lo
	s_barrier_signal -1
	s_barrier_wait -1
	ds_store_b128 v11, v[6:9]
	s_wait_dscnt 0x0
	s_barrier_signal -1
	s_barrier_wait -1
	v_cmpx_lt_u32_e32 31, v0
	s_cbranch_execz .LBB86_27
; %bb.24:
	v_add_nc_u32_e32 v12, 0xffffff80, v1
	s_mov_b32 s3, exec_lo
	ds_load_b32 v12, v12
	s_wait_dscnt 0x0
	v_cmpx_eq_u32_e64 v10, v12
	s_cbranch_execz .LBB86_26
; %bb.25:
	v_add_nc_u32_e32 v12, 0xfffffe00, v11
	ds_load_b128 v[12:15], v12
	s_wait_dscnt 0x0
	v_add_f64_e32 v[6:7], v[6:7], v[12:13]
	v_add_f64_e32 v[8:9], v[8:9], v[14:15]
.LBB86_26:
	s_or_b32 exec_lo, exec_lo, s3
.LBB86_27:
	s_delay_alu instid0(SALU_CYCLE_1) | instskip(NEXT) | instid1(SALU_CYCLE_1)
	s_or_b32 exec_lo, exec_lo, s2
	s_mov_b32 s2, exec_lo
	s_barrier_signal -1
	s_barrier_wait -1
	ds_store_b128 v11, v[6:9]
	s_wait_dscnt 0x0
	s_barrier_signal -1
	s_barrier_wait -1
	v_cmpx_lt_u32_e32 63, v0
	s_cbranch_execz .LBB86_31
; %bb.28:
	v_add_nc_u32_e32 v12, 0xffffff00, v1
	s_mov_b32 s3, exec_lo
	ds_load_b32 v12, v12
	s_wait_dscnt 0x0
	v_cmpx_eq_u32_e64 v10, v12
	s_cbranch_execz .LBB86_30
; %bb.29:
	v_add_nc_u32_e32 v12, 0xfffffc00, v11
	ds_load_b128 v[12:15], v12
	s_wait_dscnt 0x0
	v_add_f64_e32 v[6:7], v[6:7], v[12:13]
	v_add_f64_e32 v[8:9], v[8:9], v[14:15]
.LBB86_30:
	s_or_b32 exec_lo, exec_lo, s3
.LBB86_31:
	s_delay_alu instid0(SALU_CYCLE_1)
	s_or_b32 exec_lo, exec_lo, s2
	s_load_b64 s[2:3], s[0:1], 0x38
	s_wait_xcnt 0x0
	s_mov_b32 s0, exec_lo
	s_barrier_signal -1
	s_barrier_wait -1
	ds_store_b128 v11, v[6:9]
	s_wait_dscnt 0x0
	s_barrier_signal -1
	s_barrier_wait -1
	v_cmpx_lt_u32_e32 0x7f, v0
	s_cbranch_execz .LBB86_35
; %bb.32:
	v_add_nc_u32_e32 v12, 0xfffffe00, v1
	s_mov_b32 s1, exec_lo
	ds_load_b32 v12, v12
	s_wait_dscnt 0x0
	v_cmpx_eq_u32_e64 v10, v12
	s_cbranch_execz .LBB86_34
; %bb.33:
	v_add_nc_u32_e32 v12, 0xfffff800, v11
	ds_load_b128 v[12:15], v12
	s_wait_dscnt 0x0
	v_add_f64_e32 v[6:7], v[6:7], v[12:13]
	v_add_f64_e32 v[8:9], v[8:9], v[14:15]
.LBB86_34:
	s_or_b32 exec_lo, exec_lo, s1
.LBB86_35:
	s_delay_alu instid0(SALU_CYCLE_1) | instskip(NEXT) | instid1(SALU_CYCLE_1)
	s_or_b32 exec_lo, exec_lo, s0
	s_mov_b32 s1, exec_lo
	s_barrier_signal -1
	s_barrier_wait -1
	ds_store_b128 v11, v[6:9]
	s_wait_dscnt 0x0
	s_barrier_signal -1
	s_barrier_wait -1
	v_cmpx_gt_u32_e32 0xff, v0
	s_cbranch_execz .LBB86_38
; %bb.36:
	ds_load_b32 v1, v1 offset:4
	v_cmp_lt_i32_e64 s0, -1, v10
	s_wait_dscnt 0x0
	v_cmp_ne_u32_e32 vcc_lo, v10, v1
	s_and_b32 s0, s0, vcc_lo
	s_delay_alu instid0(SALU_CYCLE_1)
	s_and_b32 exec_lo, exec_lo, s0
	s_cbranch_execz .LBB86_38
; %bb.37:
	v_dual_mul_f64 v[12:13], v[8:9], -v[4:5] :: v_dual_mov_b32 v11, 0
	v_mul_f64_e32 v[14:15], v[2:3], v[8:9]
	s_wait_kmcnt 0x0
	s_delay_alu instid0(VALU_DEP_2) | instskip(NEXT) | instid1(VALU_DEP_3)
	v_lshl_add_u64 v[16:17], v[10:11], 4, s[2:3]
	v_fmac_f64_e32 v[12:13], v[2:3], v[6:7]
	s_delay_alu instid0(VALU_DEP_3)
	v_fmac_f64_e32 v[14:15], v[4:5], v[6:7]
	global_atomic_add_f64 v[16:17], v[12:13], off scope:SCOPE_DEV
	s_wait_xcnt 0x0
	global_atomic_add_f64 v[16:17], v[14:15], off offset:8 scope:SCOPE_DEV
.LBB86_38:
	s_wait_xcnt 0x0
	s_or_b32 exec_lo, exec_lo, s1
	v_cmp_eq_u32_e32 vcc_lo, 0xff, v0
	v_cmp_lt_i32_e64 s0, -1, v10
	s_and_b32 s0, vcc_lo, s0
	s_delay_alu instid0(SALU_CYCLE_1)
	s_and_b32 exec_lo, exec_lo, s0
	s_cbranch_execz .LBB86_40
; %bb.39:
	v_dual_mul_f64 v[0:1], v[8:9], -v[4:5] :: v_dual_mov_b32 v11, 0
	v_mul_f64_e32 v[8:9], v[2:3], v[8:9]
	s_delay_alu instid0(VALU_DEP_2) | instskip(SKIP_1) | instid1(VALU_DEP_3)
	v_fmac_f64_e32 v[0:1], v[2:3], v[6:7]
	s_wait_kmcnt 0x0
	v_lshl_add_u64 v[2:3], v[10:11], 4, s[2:3]
	s_delay_alu instid0(VALU_DEP_3)
	v_fmac_f64_e32 v[8:9], v[4:5], v[6:7]
	global_atomic_add_f64 v[2:3], v[0:1], off scope:SCOPE_DEV
	s_wait_xcnt 0x0
	global_atomic_add_f64 v[2:3], v[8:9], off offset:8 scope:SCOPE_DEV
.LBB86_40:
	s_endpgm
	.section	.rodata,"a",@progbits
	.p2align	6, 0x0
	.amdhsa_kernel _ZN9rocsparseL19coomvn_atomic_loopsILj256ELj1Eid21rocsparse_complex_numIdES2_S2_EEvlNS_24const_host_device_scalarIT5_EEPKT1_S8_PKT2_PKT3_PT4_21rocsparse_index_base_b
		.amdhsa_group_segment_fixed_size 5120
		.amdhsa_private_segment_fixed_size 0
		.amdhsa_kernarg_size 72
		.amdhsa_user_sgpr_count 2
		.amdhsa_user_sgpr_dispatch_ptr 0
		.amdhsa_user_sgpr_queue_ptr 0
		.amdhsa_user_sgpr_kernarg_segment_ptr 1
		.amdhsa_user_sgpr_dispatch_id 0
		.amdhsa_user_sgpr_kernarg_preload_length 0
		.amdhsa_user_sgpr_kernarg_preload_offset 0
		.amdhsa_user_sgpr_private_segment_size 0
		.amdhsa_wavefront_size32 1
		.amdhsa_uses_dynamic_stack 0
		.amdhsa_enable_private_segment 0
		.amdhsa_system_sgpr_workgroup_id_x 1
		.amdhsa_system_sgpr_workgroup_id_y 0
		.amdhsa_system_sgpr_workgroup_id_z 0
		.amdhsa_system_sgpr_workgroup_info 0
		.amdhsa_system_vgpr_workitem_id 0
		.amdhsa_next_free_vgpr 18
		.amdhsa_next_free_sgpr 20
		.amdhsa_named_barrier_count 0
		.amdhsa_reserve_vcc 1
		.amdhsa_float_round_mode_32 0
		.amdhsa_float_round_mode_16_64 0
		.amdhsa_float_denorm_mode_32 3
		.amdhsa_float_denorm_mode_16_64 3
		.amdhsa_fp16_overflow 0
		.amdhsa_memory_ordered 1
		.amdhsa_forward_progress 1
		.amdhsa_inst_pref_size 12
		.amdhsa_round_robin_scheduling 0
		.amdhsa_exception_fp_ieee_invalid_op 0
		.amdhsa_exception_fp_denorm_src 0
		.amdhsa_exception_fp_ieee_div_zero 0
		.amdhsa_exception_fp_ieee_overflow 0
		.amdhsa_exception_fp_ieee_underflow 0
		.amdhsa_exception_fp_ieee_inexact 0
		.amdhsa_exception_int_div_zero 0
	.end_amdhsa_kernel
	.section	.text._ZN9rocsparseL19coomvn_atomic_loopsILj256ELj1Eid21rocsparse_complex_numIdES2_S2_EEvlNS_24const_host_device_scalarIT5_EEPKT1_S8_PKT2_PKT3_PT4_21rocsparse_index_base_b,"axG",@progbits,_ZN9rocsparseL19coomvn_atomic_loopsILj256ELj1Eid21rocsparse_complex_numIdES2_S2_EEvlNS_24const_host_device_scalarIT5_EEPKT1_S8_PKT2_PKT3_PT4_21rocsparse_index_base_b,comdat
.Lfunc_end86:
	.size	_ZN9rocsparseL19coomvn_atomic_loopsILj256ELj1Eid21rocsparse_complex_numIdES2_S2_EEvlNS_24const_host_device_scalarIT5_EEPKT1_S8_PKT2_PKT3_PT4_21rocsparse_index_base_b, .Lfunc_end86-_ZN9rocsparseL19coomvn_atomic_loopsILj256ELj1Eid21rocsparse_complex_numIdES2_S2_EEvlNS_24const_host_device_scalarIT5_EEPKT1_S8_PKT2_PKT3_PT4_21rocsparse_index_base_b
                                        ; -- End function
	.set _ZN9rocsparseL19coomvn_atomic_loopsILj256ELj1Eid21rocsparse_complex_numIdES2_S2_EEvlNS_24const_host_device_scalarIT5_EEPKT1_S8_PKT2_PKT3_PT4_21rocsparse_index_base_b.num_vgpr, 18
	.set _ZN9rocsparseL19coomvn_atomic_loopsILj256ELj1Eid21rocsparse_complex_numIdES2_S2_EEvlNS_24const_host_device_scalarIT5_EEPKT1_S8_PKT2_PKT3_PT4_21rocsparse_index_base_b.num_agpr, 0
	.set _ZN9rocsparseL19coomvn_atomic_loopsILj256ELj1Eid21rocsparse_complex_numIdES2_S2_EEvlNS_24const_host_device_scalarIT5_EEPKT1_S8_PKT2_PKT3_PT4_21rocsparse_index_base_b.numbered_sgpr, 20
	.set _ZN9rocsparseL19coomvn_atomic_loopsILj256ELj1Eid21rocsparse_complex_numIdES2_S2_EEvlNS_24const_host_device_scalarIT5_EEPKT1_S8_PKT2_PKT3_PT4_21rocsparse_index_base_b.num_named_barrier, 0
	.set _ZN9rocsparseL19coomvn_atomic_loopsILj256ELj1Eid21rocsparse_complex_numIdES2_S2_EEvlNS_24const_host_device_scalarIT5_EEPKT1_S8_PKT2_PKT3_PT4_21rocsparse_index_base_b.private_seg_size, 0
	.set _ZN9rocsparseL19coomvn_atomic_loopsILj256ELj1Eid21rocsparse_complex_numIdES2_S2_EEvlNS_24const_host_device_scalarIT5_EEPKT1_S8_PKT2_PKT3_PT4_21rocsparse_index_base_b.uses_vcc, 1
	.set _ZN9rocsparseL19coomvn_atomic_loopsILj256ELj1Eid21rocsparse_complex_numIdES2_S2_EEvlNS_24const_host_device_scalarIT5_EEPKT1_S8_PKT2_PKT3_PT4_21rocsparse_index_base_b.uses_flat_scratch, 0
	.set _ZN9rocsparseL19coomvn_atomic_loopsILj256ELj1Eid21rocsparse_complex_numIdES2_S2_EEvlNS_24const_host_device_scalarIT5_EEPKT1_S8_PKT2_PKT3_PT4_21rocsparse_index_base_b.has_dyn_sized_stack, 0
	.set _ZN9rocsparseL19coomvn_atomic_loopsILj256ELj1Eid21rocsparse_complex_numIdES2_S2_EEvlNS_24const_host_device_scalarIT5_EEPKT1_S8_PKT2_PKT3_PT4_21rocsparse_index_base_b.has_recursion, 0
	.set _ZN9rocsparseL19coomvn_atomic_loopsILj256ELj1Eid21rocsparse_complex_numIdES2_S2_EEvlNS_24const_host_device_scalarIT5_EEPKT1_S8_PKT2_PKT3_PT4_21rocsparse_index_base_b.has_indirect_call, 0
	.section	.AMDGPU.csdata,"",@progbits
; Kernel info:
; codeLenInByte = 1512
; TotalNumSgprs: 22
; NumVgprs: 18
; ScratchSize: 0
; MemoryBound: 0
; FloatMode: 240
; IeeeMode: 1
; LDSByteSize: 5120 bytes/workgroup (compile time only)
; SGPRBlocks: 0
; VGPRBlocks: 1
; NumSGPRsForWavesPerEU: 22
; NumVGPRsForWavesPerEU: 18
; NamedBarCnt: 0
; Occupancy: 16
; WaveLimiterHint : 1
; COMPUTE_PGM_RSRC2:SCRATCH_EN: 0
; COMPUTE_PGM_RSRC2:USER_SGPR: 2
; COMPUTE_PGM_RSRC2:TRAP_HANDLER: 0
; COMPUTE_PGM_RSRC2:TGID_X_EN: 1
; COMPUTE_PGM_RSRC2:TGID_Y_EN: 0
; COMPUTE_PGM_RSRC2:TGID_Z_EN: 0
; COMPUTE_PGM_RSRC2:TIDIG_COMP_CNT: 0
	.section	.text._ZN9rocsparseL19coomvn_atomic_loopsILj256ELj2Eid21rocsparse_complex_numIdES2_S2_EEvlNS_24const_host_device_scalarIT5_EEPKT1_S8_PKT2_PKT3_PT4_21rocsparse_index_base_b,"axG",@progbits,_ZN9rocsparseL19coomvn_atomic_loopsILj256ELj2Eid21rocsparse_complex_numIdES2_S2_EEvlNS_24const_host_device_scalarIT5_EEPKT1_S8_PKT2_PKT3_PT4_21rocsparse_index_base_b,comdat
	.globl	_ZN9rocsparseL19coomvn_atomic_loopsILj256ELj2Eid21rocsparse_complex_numIdES2_S2_EEvlNS_24const_host_device_scalarIT5_EEPKT1_S8_PKT2_PKT3_PT4_21rocsparse_index_base_b ; -- Begin function _ZN9rocsparseL19coomvn_atomic_loopsILj256ELj2Eid21rocsparse_complex_numIdES2_S2_EEvlNS_24const_host_device_scalarIT5_EEPKT1_S8_PKT2_PKT3_PT4_21rocsparse_index_base_b
	.p2align	8
	.type	_ZN9rocsparseL19coomvn_atomic_loopsILj256ELj2Eid21rocsparse_complex_numIdES2_S2_EEvlNS_24const_host_device_scalarIT5_EEPKT1_S8_PKT2_PKT3_PT4_21rocsparse_index_base_b,@function
_ZN9rocsparseL19coomvn_atomic_loopsILj256ELj2Eid21rocsparse_complex_numIdES2_S2_EEvlNS_24const_host_device_scalarIT5_EEPKT1_S8_PKT2_PKT3_PT4_21rocsparse_index_base_b: ; @_ZN9rocsparseL19coomvn_atomic_loopsILj256ELj2Eid21rocsparse_complex_numIdES2_S2_EEvlNS_24const_host_device_scalarIT5_EEPKT1_S8_PKT2_PKT3_PT4_21rocsparse_index_base_b
; %bb.0:
	s_clause 0x1
	s_load_b64 s[24:25], s[0:1], 0x40
	s_load_b128 s[20:23], s[0:1], 0x0
	v_mov_b32_e32 v11, 0
	s_or_b64 s[2:3], s[0:1], 8
	s_wait_kmcnt 0x0
	s_bitcmp1_b32 s25, 0
	s_cselect_b32 s3, s3, s23
	s_cselect_b32 s2, s2, s22
	flat_load_b128 v[2:5], v11, s[2:3]
	s_wait_loadcnt_dscnt 0x0
	v_cmp_neq_f64_e32 vcc_lo, 0, v[2:3]
	v_cmp_neq_f64_e64 s2, 0, v[4:5]
	s_or_b32 s2, vcc_lo, s2
	s_delay_alu instid0(SALU_CYCLE_1)
	s_and_saveexec_b32 s3, s2
	s_cbranch_execz .LBB87_92
; %bb.1:
	s_load_b256 s[12:19], s[0:1], 0x18
	s_bfe_u32 s2, ttmp6, 0x4000c
	s_and_b32 s3, ttmp6, 15
	s_add_co_i32 s2, s2, 1
	s_getreg_b32 s4, hwreg(HW_REG_IB_STS2, 6, 4)
	s_mul_i32 s2, ttmp9, s2
	v_mov_b64_e32 v[6:7], 0
	s_add_co_i32 s3, s3, s2
	s_cmp_eq_u32 s4, 0
	v_mov_b32_e32 v14, -1
	s_cselect_b32 s2, ttmp9, s3
	s_delay_alu instid0(SALU_CYCLE_1) | instskip(NEXT) | instid1(VALU_DEP_3)
	v_lshl_or_b32 v10, s2, 9, v0
	v_mov_b64_e32 v[8:9], v[6:7]
	s_mov_b32 s2, exec_lo
	s_delay_alu instid0(VALU_DEP_2)
	v_lshlrev_b64_e32 v[12:13], 2, v[10:11]
	s_wait_kmcnt 0x0
	v_lshl_add_u64 v[16:17], v[10:11], 3, s[16:17]
	v_cmpx_gt_i64_e64 s[20:21], v[10:11]
	s_cbranch_execz .LBB87_3
; %bb.2:
	s_delay_alu instid0(VALU_DEP_3)
	v_add_nc_u64_e32 v[6:7], s[14:15], v[12:13]
	global_load_b32 v1, v[6:7], off th:TH_LOAD_NT
	s_wait_xcnt 0x0
	v_add_nc_u64_e32 v[6:7], s[12:13], v[12:13]
	s_wait_loadcnt 0x0
	v_subrev_nc_u32_e32 v1, s24, v1
	global_load_b128 v[18:21], v1, s[18:19] scale_offset
	global_load_b64 v[14:15], v[16:17], off th:TH_LOAD_NT
	global_load_b32 v1, v[6:7], off th:TH_LOAD_NT
	s_wait_loadcnt 0x2
	s_wait_xcnt 0x0
	v_mul_f64_e32 v[6:7], 0x80000000, v[20:21]
	s_wait_loadcnt 0x1
	v_mul_f64_e32 v[8:9], v[14:15], v[20:21]
	s_delay_alu instid0(VALU_DEP_2) | instskip(NEXT) | instid1(VALU_DEP_2)
	v_fmac_f64_e32 v[6:7], v[14:15], v[18:19]
	v_fmac_f64_e32 v[8:9], 0, v[18:19]
	s_wait_loadcnt 0x0
	v_subrev_nc_u32_e32 v14, s24, v1
.LBB87_3:
	s_or_b32 exec_lo, exec_lo, s2
	v_dual_lshlrev_b32 v15, 2, v0 :: v_dual_lshlrev_b32 v20, 4, v0
	v_cmp_eq_u32_e64 s8, 0, v0
	v_cmp_ne_u32_e32 vcc_lo, 0, v0
	ds_store_b32 v15, v14 offset:4096
	ds_store_b128 v20, v[6:9]
	v_or_b32_e32 v1, 0x1000, v15
	s_wait_dscnt 0x0
	s_barrier_signal -1
	s_barrier_wait -1
	s_delay_alu instid0(VALU_DEP_1)
	v_add_nc_u32_e32 v21, -4, v1
	s_and_saveexec_b32 s3, vcc_lo
	s_cbranch_execz .LBB87_7
; %bb.4:
	ds_load_b32 v15, v21
	s_mov_b32 s4, exec_lo
	s_wait_dscnt 0x0
	v_cmpx_eq_u32_e64 v14, v15
	s_cbranch_execz .LBB87_6
; %bb.5:
	v_add_nc_u32_e32 v15, -16, v20
	ds_load_b128 v[22:25], v15
	s_wait_dscnt 0x0
	v_add_f64_e32 v[6:7], v[6:7], v[22:23]
	v_add_f64_e32 v[8:9], v[8:9], v[24:25]
.LBB87_6:
	s_or_b32 exec_lo, exec_lo, s4
.LBB87_7:
	s_delay_alu instid0(SALU_CYCLE_1)
	s_or_b32 exec_lo, exec_lo, s3
	v_cmp_lt_u32_e64 s2, 1, v0
	v_add_nc_u32_e32 v22, -8, v1
	s_barrier_signal -1
	s_barrier_wait -1
	ds_store_b128 v20, v[6:9]
	s_wait_dscnt 0x0
	s_barrier_signal -1
	s_barrier_wait -1
	s_and_saveexec_b32 s4, s2
	s_cbranch_execz .LBB87_11
; %bb.8:
	ds_load_b32 v15, v22
	s_mov_b32 s5, exec_lo
	s_wait_dscnt 0x0
	v_cmpx_eq_u32_e64 v14, v15
	s_cbranch_execz .LBB87_10
; %bb.9:
	v_subrev_nc_u32_e32 v15, 32, v20
	ds_load_b128 v[24:27], v15
	s_wait_dscnt 0x0
	v_add_f64_e32 v[6:7], v[6:7], v[24:25]
	v_add_f64_e32 v[8:9], v[8:9], v[26:27]
.LBB87_10:
	s_or_b32 exec_lo, exec_lo, s5
.LBB87_11:
	s_delay_alu instid0(SALU_CYCLE_1)
	s_or_b32 exec_lo, exec_lo, s4
	v_cmp_lt_u32_e64 s3, 3, v0
	v_add_nc_u32_e32 v23, -16, v1
	s_barrier_signal -1
	s_barrier_wait -1
	ds_store_b128 v20, v[6:9]
	s_wait_dscnt 0x0
	s_barrier_signal -1
	s_barrier_wait -1
	s_and_saveexec_b32 s5, s3
	s_cbranch_execz .LBB87_15
; %bb.12:
	ds_load_b32 v15, v23
	s_mov_b32 s6, exec_lo
	s_wait_dscnt 0x0
	v_cmpx_eq_u32_e64 v14, v15
	s_cbranch_execz .LBB87_14
; %bb.13:
	v_subrev_nc_u32_e32 v15, 64, v20
	ds_load_b128 v[24:27], v15
	s_wait_dscnt 0x0
	v_add_f64_e32 v[6:7], v[6:7], v[24:25]
	v_add_f64_e32 v[8:9], v[8:9], v[26:27]
.LBB87_14:
	s_or_b32 exec_lo, exec_lo, s6
.LBB87_15:
	s_delay_alu instid0(SALU_CYCLE_1)
	s_or_b32 exec_lo, exec_lo, s5
	v_cmp_lt_u32_e64 s4, 7, v0
	v_subrev_nc_u32_e32 v24, 32, v1
	s_barrier_signal -1
	s_barrier_wait -1
	ds_store_b128 v20, v[6:9]
	s_wait_dscnt 0x0
	s_barrier_signal -1
	s_barrier_wait -1
	s_and_saveexec_b32 s6, s4
	s_cbranch_execz .LBB87_19
; %bb.16:
	ds_load_b32 v15, v24
	s_mov_b32 s7, exec_lo
	s_wait_dscnt 0x0
	v_cmpx_eq_u32_e64 v14, v15
	s_cbranch_execz .LBB87_18
; %bb.17:
	v_add_nc_u32_e32 v15, 0xffffff80, v20
	ds_load_b128 v[26:29], v15
	s_wait_dscnt 0x0
	v_add_f64_e32 v[6:7], v[6:7], v[26:27]
	v_add_f64_e32 v[8:9], v[8:9], v[28:29]
.LBB87_18:
	s_or_b32 exec_lo, exec_lo, s7
.LBB87_19:
	s_delay_alu instid0(SALU_CYCLE_1)
	s_or_b32 exec_lo, exec_lo, s6
	v_cmp_lt_u32_e64 s5, 15, v0
	v_subrev_nc_u32_e32 v25, 64, v1
	s_barrier_signal -1
	s_barrier_wait -1
	ds_store_b128 v20, v[6:9]
	s_wait_dscnt 0x0
	s_barrier_signal -1
	s_barrier_wait -1
	s_and_saveexec_b32 s7, s5
	s_cbranch_execz .LBB87_23
; %bb.20:
	ds_load_b32 v15, v25
	s_mov_b32 s9, exec_lo
	s_wait_dscnt 0x0
	v_cmpx_eq_u32_e64 v14, v15
	s_cbranch_execz .LBB87_22
; %bb.21:
	v_add_nc_u32_e32 v15, 0xffffff00, v20
	ds_load_b128 v[26:29], v15
	s_wait_dscnt 0x0
	v_add_f64_e32 v[6:7], v[6:7], v[26:27]
	v_add_f64_e32 v[8:9], v[8:9], v[28:29]
.LBB87_22:
	s_or_b32 exec_lo, exec_lo, s9
.LBB87_23:
	s_delay_alu instid0(SALU_CYCLE_1)
	s_or_b32 exec_lo, exec_lo, s7
	v_cmp_lt_u32_e64 s6, 31, v0
	v_add_nc_u32_e32 v26, 0xffffff80, v1
	s_barrier_signal -1
	s_barrier_wait -1
	ds_store_b128 v20, v[6:9]
	s_wait_dscnt 0x0
	s_barrier_signal -1
	s_barrier_wait -1
	s_and_saveexec_b32 s9, s6
	s_cbranch_execz .LBB87_27
; %bb.24:
	ds_load_b32 v15, v26
	s_mov_b32 s10, exec_lo
	s_wait_dscnt 0x0
	v_cmpx_eq_u32_e64 v14, v15
	s_cbranch_execz .LBB87_26
; %bb.25:
	v_add_nc_u32_e32 v15, 0xfffffe00, v20
	ds_load_b128 v[28:31], v15
	s_wait_dscnt 0x0
	v_add_f64_e32 v[6:7], v[6:7], v[28:29]
	v_add_f64_e32 v[8:9], v[8:9], v[30:31]
.LBB87_26:
	s_or_b32 exec_lo, exec_lo, s10
.LBB87_27:
	s_delay_alu instid0(SALU_CYCLE_1)
	s_or_b32 exec_lo, exec_lo, s9
	v_cmp_lt_u32_e64 s7, 63, v0
	v_add_nc_u32_e32 v27, 0xffffff00, v1
	s_barrier_signal -1
	s_barrier_wait -1
	ds_store_b128 v20, v[6:9]
	s_wait_dscnt 0x0
	s_barrier_signal -1
	s_barrier_wait -1
	s_and_saveexec_b32 s10, s7
	s_cbranch_execz .LBB87_31
; %bb.28:
	ds_load_b32 v15, v27
	s_mov_b32 s11, exec_lo
	s_wait_dscnt 0x0
	v_cmpx_eq_u32_e64 v14, v15
	s_cbranch_execz .LBB87_30
; %bb.29:
	v_add_nc_u32_e32 v15, 0xfffffc00, v20
	ds_load_b128 v[28:31], v15
	s_wait_dscnt 0x0
	v_add_f64_e32 v[6:7], v[6:7], v[28:29]
	v_add_f64_e32 v[8:9], v[8:9], v[30:31]
.LBB87_30:
	s_or_b32 exec_lo, exec_lo, s11
.LBB87_31:
	s_delay_alu instid0(SALU_CYCLE_1)
	s_or_b32 exec_lo, exec_lo, s10
	s_load_b64 s[16:17], s[0:1], 0x38
	s_wait_xcnt 0x0
	v_cmp_lt_u32_e64 s0, 0x7f, v0
	v_add_nc_u32_e32 v28, 0xfffffe00, v1
	s_barrier_signal -1
	s_barrier_wait -1
	ds_store_b128 v20, v[6:9]
	s_wait_dscnt 0x0
	s_barrier_signal -1
	s_barrier_wait -1
	s_and_saveexec_b32 s9, s0
	s_cbranch_execz .LBB87_35
; %bb.32:
	ds_load_b32 v15, v28
	s_mov_b32 s10, exec_lo
	s_wait_dscnt 0x0
	v_cmpx_eq_u32_e64 v14, v15
	s_cbranch_execz .LBB87_34
; %bb.33:
	v_add_nc_u32_e32 v15, 0xfffff800, v20
	ds_load_b128 v[30:33], v15
	s_wait_dscnt 0x0
	v_add_f64_e32 v[6:7], v[6:7], v[30:31]
	v_add_f64_e32 v[8:9], v[8:9], v[32:33]
.LBB87_34:
	s_or_b32 exec_lo, exec_lo, s10
.LBB87_35:
	s_delay_alu instid0(SALU_CYCLE_1)
	s_or_b32 exec_lo, exec_lo, s9
	v_cmp_gt_u32_e64 s1, 0xff, v0
	s_barrier_signal -1
	s_barrier_wait -1
	ds_store_b128 v20, v[6:9]
	s_wait_dscnt 0x0
	s_barrier_signal -1
	s_barrier_wait -1
	s_and_saveexec_b32 s11, s1
	s_cbranch_execz .LBB87_38
; %bb.36:
	ds_load_b32 v15, v1 offset:4
	v_cmp_lt_i32_e64 s10, -1, v14
	s_wait_dscnt 0x0
	v_cmp_ne_u32_e64 s9, v14, v15
	s_and_b32 s9, s10, s9
	s_delay_alu instid0(SALU_CYCLE_1)
	s_and_b32 exec_lo, exec_lo, s9
	s_cbranch_execz .LBB87_38
; %bb.37:
	v_dual_mul_f64 v[18:19], v[8:9], -v[4:5] :: v_dual_mov_b32 v15, 0
	v_mul_f64_e32 v[8:9], v[2:3], v[8:9]
	s_delay_alu instid0(VALU_DEP_2) | instskip(NEXT) | instid1(VALU_DEP_2)
	v_fmac_f64_e32 v[18:19], v[2:3], v[6:7]
	v_fmac_f64_e32 v[8:9], v[4:5], v[6:7]
	s_wait_kmcnt 0x0
	v_lshl_add_u64 v[6:7], v[14:15], 4, s[16:17]
	global_atomic_add_f64 v[6:7], v[18:19], off scope:SCOPE_DEV
	s_wait_xcnt 0x0
	global_atomic_add_f64 v[6:7], v[8:9], off offset:8 scope:SCOPE_DEV
.LBB87_38:
	s_wait_xcnt 0x0
	s_or_b32 exec_lo, exec_lo, s11
	v_add_nc_u64_e32 v[8:9], 0x100, v[10:11]
	v_mov_b64_e32 v[6:7], 0
	v_mov_b32_e32 v14, -1
	s_delay_alu instid0(VALU_DEP_3)
	v_cmp_gt_i64_e64 s9, s[20:21], v[8:9]
	v_mov_b64_e32 v[8:9], 0
	s_and_saveexec_b32 s10, s9
	s_cbranch_execz .LBB87_40
; %bb.39:
	v_add_nc_u64_e32 v[6:7], s[14:15], v[12:13]
	global_load_b32 v6, v[6:7], off offset:1024 th:TH_LOAD_NT
	s_wait_loadcnt 0x0
	v_subrev_nc_u32_e32 v6, s24, v6
	global_load_b128 v[30:33], v6, s[18:19] scale_offset
	global_load_b64 v[10:11], v[16:17], off offset:2048 th:TH_LOAD_NT
	s_wait_xcnt 0x1
	v_add_nc_u64_e32 v[6:7], s[12:13], v[12:13]
	global_load_b32 v12, v[6:7], off offset:1024 th:TH_LOAD_NT
	s_wait_loadcnt 0x2
	s_wait_xcnt 0x0
	v_mul_f64_e32 v[6:7], 0x80000000, v[32:33]
	s_wait_loadcnt 0x1
	v_mul_f64_e32 v[8:9], v[10:11], v[32:33]
	s_wait_loadcnt 0x0
	v_subrev_nc_u32_e32 v14, s24, v12
	s_delay_alu instid0(VALU_DEP_3) | instskip(NEXT) | instid1(VALU_DEP_3)
	v_fmac_f64_e32 v[6:7], v[10:11], v[30:31]
	v_fmac_f64_e32 v[8:9], 0, v[30:31]
.LBB87_40:
	s_or_b32 exec_lo, exec_lo, s10
	s_and_saveexec_b32 s9, s8
	s_cbranch_execz .LBB87_55
; %bb.41:
	v_mov_b32_e32 v10, 0
	s_mov_b32 s11, exec_lo
	ds_load_b32 v10, v10 offset:5116
	s_wait_dscnt 0x0
	v_readfirstlane_b32 s10, v10
	v_cmpx_ne_u32_e64 v14, v10
	s_xor_b32 s12, exec_lo, s11
	s_cbranch_execz .LBB87_52
; %bb.42:
	s_cmp_lt_i32 s10, 0
	s_cbranch_scc1 .LBB87_52
; %bb.43:
	v_mov_b32_e32 v10, 0
	v_mov_b64_e32 v[16:17], 0x8000000000000000
	s_mov_b32 s8, exec_lo
	ds_load_b128 v[10:13], v10 offset:4080
	s_wait_dscnt 0x0
	v_mul_f64_e64 v[18:19], v[12:13], -v[4:5]
	s_delay_alu instid0(VALU_DEP_1)
	v_fmac_f64_e32 v[18:19], v[2:3], v[10:11]
.LBB87_44:                              ; =>This Inner Loop Header: Depth=1
	s_ctz_i32_b32 s11, s8
	s_delay_alu instid0(VALU_DEP_1) | instid1(SALU_CYCLE_1)
	v_readlane_b32 s15, v19, s11
	s_delay_alu instid0(VALU_DEP_2) | instskip(SKIP_1) | instid1(SALU_CYCLE_1)
	v_readlane_b32 s14, v18, s11
	s_lshl_b32 s11, 1, s11
	s_and_not1_b32 s8, s8, s11
	v_add_f64_e32 v[16:17], s[14:15], v[16:17]
	s_cmp_lg_u32 s8, 0
	s_cbranch_scc1 .LBB87_44
; %bb.45:
	v_mbcnt_lo_u32_b32 v15, exec_lo, 0
	s_mov_b32 s11, 0
	s_delay_alu instid0(SALU_CYCLE_1) | instskip(SKIP_4) | instid1(SALU_CYCLE_1)
	s_lshl_b64 s[10:11], s[10:11], 4
	s_wait_kmcnt 0x0
	s_add_nc_u64 s[10:11], s[16:17], s[10:11]
	v_cmp_eq_u32_e64 s8, 0, v15
	s_and_saveexec_b32 s13, s8
	s_xor_b32 s8, exec_lo, s13
	s_cbranch_execz .LBB87_47
; %bb.46:
	v_mov_b32_e32 v15, 0
	global_atomic_add_f64 v15, v[16:17], s[10:11] scope:SCOPE_DEV
.LBB87_47:
	s_wait_xcnt 0x0
	s_or_b32 exec_lo, exec_lo, s8
	v_mul_f64_e32 v[12:13], v[2:3], v[12:13]
	s_mov_b32 s8, exec_lo
	s_delay_alu instid0(VALU_DEP_1)
	v_fmac_f64_e32 v[12:13], v[4:5], v[10:11]
	v_mov_b64_e32 v[10:11], 0x8000000000000000
.LBB87_48:                              ; =>This Inner Loop Header: Depth=1
	s_ctz_i32_b32 s13, s8
	s_delay_alu instid0(VALU_DEP_2) | instid1(SALU_CYCLE_1)
	v_readlane_b32 s15, v13, s13
	s_delay_alu instid0(VALU_DEP_3) | instskip(SKIP_1) | instid1(SALU_CYCLE_1)
	v_readlane_b32 s14, v12, s13
	s_lshl_b32 s13, 1, s13
	s_and_not1_b32 s8, s8, s13
	v_add_f64_e32 v[10:11], s[14:15], v[10:11]
	s_cmp_lg_u32 s8, 0
	s_cbranch_scc1 .LBB87_48
; %bb.49:
	v_mbcnt_lo_u32_b32 v12, exec_lo, 0
	s_delay_alu instid0(VALU_DEP_1) | instskip(SKIP_1) | instid1(SALU_CYCLE_1)
	v_cmp_eq_u32_e64 s8, 0, v12
	s_and_saveexec_b32 s13, s8
	s_xor_b32 s8, exec_lo, s13
	s_cbranch_execz .LBB87_51
; %bb.50:
	v_mov_b32_e32 v12, 0
	global_atomic_add_f64 v12, v[10:11], s[10:11] offset:8 scope:SCOPE_DEV
.LBB87_51:
	s_wait_xcnt 0x0
	s_or_b32 exec_lo, exec_lo, s8
.LBB87_52:
	s_and_not1_saveexec_b32 s8, s12
	s_cbranch_execz .LBB87_54
; %bb.53:
	v_mov_b32_e32 v10, 0
	ds_load_b128 v[10:13], v10 offset:4080
	s_wait_dscnt 0x0
	v_add_f64_e32 v[6:7], v[6:7], v[10:11]
	v_add_f64_e32 v[8:9], v[8:9], v[12:13]
.LBB87_54:
	s_or_b32 exec_lo, exec_lo, s8
.LBB87_55:
	s_delay_alu instid0(SALU_CYCLE_1)
	s_or_b32 exec_lo, exec_lo, s9
	s_wait_storecnt 0x0
	s_barrier_signal -1
	s_barrier_wait -1
	ds_store_b32 v1, v14
	ds_store_b128 v20, v[6:9]
	s_wait_dscnt 0x0
	s_barrier_signal -1
	s_barrier_wait -1
	s_and_saveexec_b32 s8, vcc_lo
	s_cbranch_execz .LBB87_59
; %bb.56:
	ds_load_b32 v10, v21
	s_mov_b32 s9, exec_lo
	s_wait_dscnt 0x0
	v_cmpx_eq_u32_e64 v14, v10
	s_cbranch_execz .LBB87_58
; %bb.57:
	v_add_nc_u32_e32 v10, -16, v20
	ds_load_b128 v[10:13], v10
	s_wait_dscnt 0x0
	v_add_f64_e32 v[6:7], v[6:7], v[10:11]
	v_add_f64_e32 v[8:9], v[8:9], v[12:13]
.LBB87_58:
	s_or_b32 exec_lo, exec_lo, s9
.LBB87_59:
	s_delay_alu instid0(SALU_CYCLE_1)
	s_or_b32 exec_lo, exec_lo, s8
	s_barrier_signal -1
	s_barrier_wait -1
	ds_store_b128 v20, v[6:9]
	s_wait_dscnt 0x0
	s_barrier_signal -1
	s_barrier_wait -1
	s_and_saveexec_b32 s8, s2
	s_cbranch_execz .LBB87_63
; %bb.60:
	ds_load_b32 v10, v22
	s_mov_b32 s2, exec_lo
	s_wait_dscnt 0x0
	v_cmpx_eq_u32_e64 v14, v10
	s_cbranch_execz .LBB87_62
; %bb.61:
	v_subrev_nc_u32_e32 v10, 32, v20
	ds_load_b128 v[10:13], v10
	s_wait_dscnt 0x0
	v_add_f64_e32 v[6:7], v[6:7], v[10:11]
	v_add_f64_e32 v[8:9], v[8:9], v[12:13]
.LBB87_62:
	s_or_b32 exec_lo, exec_lo, s2
.LBB87_63:
	s_delay_alu instid0(SALU_CYCLE_1)
	s_or_b32 exec_lo, exec_lo, s8
	s_barrier_signal -1
	s_barrier_wait -1
	ds_store_b128 v20, v[6:9]
	s_wait_dscnt 0x0
	s_barrier_signal -1
	s_barrier_wait -1
	s_and_saveexec_b32 s2, s3
	s_cbranch_execz .LBB87_67
; %bb.64:
	ds_load_b32 v10, v23
	s_mov_b32 s3, exec_lo
	s_wait_dscnt 0x0
	v_cmpx_eq_u32_e64 v14, v10
	s_cbranch_execz .LBB87_66
; %bb.65:
	v_subrev_nc_u32_e32 v10, 64, v20
	ds_load_b128 v[10:13], v10
	s_wait_dscnt 0x0
	v_add_f64_e32 v[6:7], v[6:7], v[10:11]
	v_add_f64_e32 v[8:9], v[8:9], v[12:13]
.LBB87_66:
	s_or_b32 exec_lo, exec_lo, s3
.LBB87_67:
	s_delay_alu instid0(SALU_CYCLE_1)
	s_or_b32 exec_lo, exec_lo, s2
	s_barrier_signal -1
	s_barrier_wait -1
	ds_store_b128 v20, v[6:9]
	s_wait_dscnt 0x0
	s_barrier_signal -1
	s_barrier_wait -1
	s_and_saveexec_b32 s2, s4
	s_cbranch_execz .LBB87_71
; %bb.68:
	ds_load_b32 v10, v24
	s_mov_b32 s3, exec_lo
	s_wait_dscnt 0x0
	v_cmpx_eq_u32_e64 v14, v10
	s_cbranch_execz .LBB87_70
; %bb.69:
	v_add_nc_u32_e32 v10, 0xffffff80, v20
	ds_load_b128 v[10:13], v10
	s_wait_dscnt 0x0
	v_add_f64_e32 v[6:7], v[6:7], v[10:11]
	v_add_f64_e32 v[8:9], v[8:9], v[12:13]
.LBB87_70:
	s_or_b32 exec_lo, exec_lo, s3
.LBB87_71:
	s_delay_alu instid0(SALU_CYCLE_1)
	s_or_b32 exec_lo, exec_lo, s2
	s_barrier_signal -1
	s_barrier_wait -1
	ds_store_b128 v20, v[6:9]
	s_wait_dscnt 0x0
	s_barrier_signal -1
	s_barrier_wait -1
	s_and_saveexec_b32 s2, s5
	s_cbranch_execz .LBB87_75
; %bb.72:
	ds_load_b32 v10, v25
	s_mov_b32 s3, exec_lo
	s_wait_dscnt 0x0
	v_cmpx_eq_u32_e64 v14, v10
	s_cbranch_execz .LBB87_74
; %bb.73:
	v_add_nc_u32_e32 v10, 0xffffff00, v20
	ds_load_b128 v[10:13], v10
	s_wait_dscnt 0x0
	v_add_f64_e32 v[6:7], v[6:7], v[10:11]
	v_add_f64_e32 v[8:9], v[8:9], v[12:13]
.LBB87_74:
	s_or_b32 exec_lo, exec_lo, s3
.LBB87_75:
	;; [unrolled: 25-line block ×5, first 2 shown]
	s_delay_alu instid0(SALU_CYCLE_1)
	s_or_b32 exec_lo, exec_lo, s2
	s_barrier_signal -1
	s_barrier_wait -1
	ds_store_b128 v20, v[6:9]
	s_wait_dscnt 0x0
	s_barrier_signal -1
	s_barrier_wait -1
	s_and_saveexec_b32 s2, s1
	s_cbranch_execz .LBB87_90
; %bb.88:
	ds_load_b32 v1, v1 offset:4
	v_cmp_lt_i32_e64 s0, -1, v14
	s_wait_dscnt 0x0
	v_cmp_ne_u32_e32 vcc_lo, v14, v1
	s_and_b32 s0, s0, vcc_lo
	s_delay_alu instid0(SALU_CYCLE_1)
	s_and_b32 exec_lo, exec_lo, s0
	s_cbranch_execz .LBB87_90
; %bb.89:
	v_dual_mul_f64 v[10:11], v[8:9], -v[4:5] :: v_dual_mov_b32 v15, 0
	v_mul_f64_e32 v[12:13], v[2:3], v[8:9]
	s_wait_kmcnt 0x0
	s_delay_alu instid0(VALU_DEP_2) | instskip(NEXT) | instid1(VALU_DEP_3)
	v_lshl_add_u64 v[16:17], v[14:15], 4, s[16:17]
	v_fmac_f64_e32 v[10:11], v[2:3], v[6:7]
	s_delay_alu instid0(VALU_DEP_3)
	v_fmac_f64_e32 v[12:13], v[4:5], v[6:7]
	global_atomic_add_f64 v[16:17], v[10:11], off scope:SCOPE_DEV
	s_wait_xcnt 0x0
	global_atomic_add_f64 v[16:17], v[12:13], off offset:8 scope:SCOPE_DEV
.LBB87_90:
	s_wait_xcnt 0x0
	s_or_b32 exec_lo, exec_lo, s2
	v_cmp_eq_u32_e32 vcc_lo, 0xff, v0
	v_cmp_lt_i32_e64 s0, -1, v14
	s_and_b32 s0, vcc_lo, s0
	s_delay_alu instid0(SALU_CYCLE_1)
	s_and_b32 exec_lo, exec_lo, s0
	s_cbranch_execz .LBB87_92
; %bb.91:
	v_dual_mul_f64 v[0:1], v[8:9], -v[4:5] :: v_dual_mov_b32 v15, 0
	v_mul_f64_e32 v[8:9], v[2:3], v[8:9]
	s_delay_alu instid0(VALU_DEP_2) | instskip(SKIP_1) | instid1(VALU_DEP_3)
	v_fmac_f64_e32 v[0:1], v[2:3], v[6:7]
	s_wait_kmcnt 0x0
	v_lshl_add_u64 v[2:3], v[14:15], 4, s[16:17]
	s_delay_alu instid0(VALU_DEP_3)
	v_fmac_f64_e32 v[8:9], v[4:5], v[6:7]
	global_atomic_add_f64 v[2:3], v[0:1], off scope:SCOPE_DEV
	s_wait_xcnt 0x0
	global_atomic_add_f64 v[2:3], v[8:9], off offset:8 scope:SCOPE_DEV
.LBB87_92:
	s_endpgm
	.section	.rodata,"a",@progbits
	.p2align	6, 0x0
	.amdhsa_kernel _ZN9rocsparseL19coomvn_atomic_loopsILj256ELj2Eid21rocsparse_complex_numIdES2_S2_EEvlNS_24const_host_device_scalarIT5_EEPKT1_S8_PKT2_PKT3_PT4_21rocsparse_index_base_b
		.amdhsa_group_segment_fixed_size 5120
		.amdhsa_private_segment_fixed_size 0
		.amdhsa_kernarg_size 72
		.amdhsa_user_sgpr_count 2
		.amdhsa_user_sgpr_dispatch_ptr 0
		.amdhsa_user_sgpr_queue_ptr 0
		.amdhsa_user_sgpr_kernarg_segment_ptr 1
		.amdhsa_user_sgpr_dispatch_id 0
		.amdhsa_user_sgpr_kernarg_preload_length 0
		.amdhsa_user_sgpr_kernarg_preload_offset 0
		.amdhsa_user_sgpr_private_segment_size 0
		.amdhsa_wavefront_size32 1
		.amdhsa_uses_dynamic_stack 0
		.amdhsa_enable_private_segment 0
		.amdhsa_system_sgpr_workgroup_id_x 1
		.amdhsa_system_sgpr_workgroup_id_y 0
		.amdhsa_system_sgpr_workgroup_id_z 0
		.amdhsa_system_sgpr_workgroup_info 0
		.amdhsa_system_vgpr_workitem_id 0
		.amdhsa_next_free_vgpr 34
		.amdhsa_next_free_sgpr 26
		.amdhsa_named_barrier_count 0
		.amdhsa_reserve_vcc 1
		.amdhsa_float_round_mode_32 0
		.amdhsa_float_round_mode_16_64 0
		.amdhsa_float_denorm_mode_32 3
		.amdhsa_float_denorm_mode_16_64 3
		.amdhsa_fp16_overflow 0
		.amdhsa_memory_ordered 1
		.amdhsa_forward_progress 1
		.amdhsa_inst_pref_size 25
		.amdhsa_round_robin_scheduling 0
		.amdhsa_exception_fp_ieee_invalid_op 0
		.amdhsa_exception_fp_denorm_src 0
		.amdhsa_exception_fp_ieee_div_zero 0
		.amdhsa_exception_fp_ieee_overflow 0
		.amdhsa_exception_fp_ieee_underflow 0
		.amdhsa_exception_fp_ieee_inexact 0
		.amdhsa_exception_int_div_zero 0
	.end_amdhsa_kernel
	.section	.text._ZN9rocsparseL19coomvn_atomic_loopsILj256ELj2Eid21rocsparse_complex_numIdES2_S2_EEvlNS_24const_host_device_scalarIT5_EEPKT1_S8_PKT2_PKT3_PT4_21rocsparse_index_base_b,"axG",@progbits,_ZN9rocsparseL19coomvn_atomic_loopsILj256ELj2Eid21rocsparse_complex_numIdES2_S2_EEvlNS_24const_host_device_scalarIT5_EEPKT1_S8_PKT2_PKT3_PT4_21rocsparse_index_base_b,comdat
.Lfunc_end87:
	.size	_ZN9rocsparseL19coomvn_atomic_loopsILj256ELj2Eid21rocsparse_complex_numIdES2_S2_EEvlNS_24const_host_device_scalarIT5_EEPKT1_S8_PKT2_PKT3_PT4_21rocsparse_index_base_b, .Lfunc_end87-_ZN9rocsparseL19coomvn_atomic_loopsILj256ELj2Eid21rocsparse_complex_numIdES2_S2_EEvlNS_24const_host_device_scalarIT5_EEPKT1_S8_PKT2_PKT3_PT4_21rocsparse_index_base_b
                                        ; -- End function
	.set _ZN9rocsparseL19coomvn_atomic_loopsILj256ELj2Eid21rocsparse_complex_numIdES2_S2_EEvlNS_24const_host_device_scalarIT5_EEPKT1_S8_PKT2_PKT3_PT4_21rocsparse_index_base_b.num_vgpr, 34
	.set _ZN9rocsparseL19coomvn_atomic_loopsILj256ELj2Eid21rocsparse_complex_numIdES2_S2_EEvlNS_24const_host_device_scalarIT5_EEPKT1_S8_PKT2_PKT3_PT4_21rocsparse_index_base_b.num_agpr, 0
	.set _ZN9rocsparseL19coomvn_atomic_loopsILj256ELj2Eid21rocsparse_complex_numIdES2_S2_EEvlNS_24const_host_device_scalarIT5_EEPKT1_S8_PKT2_PKT3_PT4_21rocsparse_index_base_b.numbered_sgpr, 26
	.set _ZN9rocsparseL19coomvn_atomic_loopsILj256ELj2Eid21rocsparse_complex_numIdES2_S2_EEvlNS_24const_host_device_scalarIT5_EEPKT1_S8_PKT2_PKT3_PT4_21rocsparse_index_base_b.num_named_barrier, 0
	.set _ZN9rocsparseL19coomvn_atomic_loopsILj256ELj2Eid21rocsparse_complex_numIdES2_S2_EEvlNS_24const_host_device_scalarIT5_EEPKT1_S8_PKT2_PKT3_PT4_21rocsparse_index_base_b.private_seg_size, 0
	.set _ZN9rocsparseL19coomvn_atomic_loopsILj256ELj2Eid21rocsparse_complex_numIdES2_S2_EEvlNS_24const_host_device_scalarIT5_EEPKT1_S8_PKT2_PKT3_PT4_21rocsparse_index_base_b.uses_vcc, 1
	.set _ZN9rocsparseL19coomvn_atomic_loopsILj256ELj2Eid21rocsparse_complex_numIdES2_S2_EEvlNS_24const_host_device_scalarIT5_EEPKT1_S8_PKT2_PKT3_PT4_21rocsparse_index_base_b.uses_flat_scratch, 0
	.set _ZN9rocsparseL19coomvn_atomic_loopsILj256ELj2Eid21rocsparse_complex_numIdES2_S2_EEvlNS_24const_host_device_scalarIT5_EEPKT1_S8_PKT2_PKT3_PT4_21rocsparse_index_base_b.has_dyn_sized_stack, 0
	.set _ZN9rocsparseL19coomvn_atomic_loopsILj256ELj2Eid21rocsparse_complex_numIdES2_S2_EEvlNS_24const_host_device_scalarIT5_EEPKT1_S8_PKT2_PKT3_PT4_21rocsparse_index_base_b.has_recursion, 0
	.set _ZN9rocsparseL19coomvn_atomic_loopsILj256ELj2Eid21rocsparse_complex_numIdES2_S2_EEvlNS_24const_host_device_scalarIT5_EEPKT1_S8_PKT2_PKT3_PT4_21rocsparse_index_base_b.has_indirect_call, 0
	.section	.AMDGPU.csdata,"",@progbits
; Kernel info:
; codeLenInByte = 3104
; TotalNumSgprs: 28
; NumVgprs: 34
; ScratchSize: 0
; MemoryBound: 0
; FloatMode: 240
; IeeeMode: 1
; LDSByteSize: 5120 bytes/workgroup (compile time only)
; SGPRBlocks: 0
; VGPRBlocks: 2
; NumSGPRsForWavesPerEU: 28
; NumVGPRsForWavesPerEU: 34
; NamedBarCnt: 0
; Occupancy: 16
; WaveLimiterHint : 1
; COMPUTE_PGM_RSRC2:SCRATCH_EN: 0
; COMPUTE_PGM_RSRC2:USER_SGPR: 2
; COMPUTE_PGM_RSRC2:TRAP_HANDLER: 0
; COMPUTE_PGM_RSRC2:TGID_X_EN: 1
; COMPUTE_PGM_RSRC2:TGID_Y_EN: 0
; COMPUTE_PGM_RSRC2:TGID_Z_EN: 0
; COMPUTE_PGM_RSRC2:TIDIG_COMP_CNT: 0
	.section	.text._ZN9rocsparseL22coomvn_segmented_loopsILj256Eld21rocsparse_complex_numIdES2_S2_EEvlT0_NS_24const_host_device_scalarIT4_EEPKS3_S8_PKT1_PKT2_PT3_PS3_PS5_21rocsparse_index_base_b,"axG",@progbits,_ZN9rocsparseL22coomvn_segmented_loopsILj256Eld21rocsparse_complex_numIdES2_S2_EEvlT0_NS_24const_host_device_scalarIT4_EEPKS3_S8_PKT1_PKT2_PT3_PS3_PS5_21rocsparse_index_base_b,comdat
	.globl	_ZN9rocsparseL22coomvn_segmented_loopsILj256Eld21rocsparse_complex_numIdES2_S2_EEvlT0_NS_24const_host_device_scalarIT4_EEPKS3_S8_PKT1_PKT2_PT3_PS3_PS5_21rocsparse_index_base_b ; -- Begin function _ZN9rocsparseL22coomvn_segmented_loopsILj256Eld21rocsparse_complex_numIdES2_S2_EEvlT0_NS_24const_host_device_scalarIT4_EEPKS3_S8_PKT1_PKT2_PT3_PS3_PS5_21rocsparse_index_base_b
	.p2align	8
	.type	_ZN9rocsparseL22coomvn_segmented_loopsILj256Eld21rocsparse_complex_numIdES2_S2_EEvlT0_NS_24const_host_device_scalarIT4_EEPKS3_S8_PKT1_PKT2_PT3_PS3_PS5_21rocsparse_index_base_b,@function
_ZN9rocsparseL22coomvn_segmented_loopsILj256Eld21rocsparse_complex_numIdES2_S2_EEvlT0_NS_24const_host_device_scalarIT4_EEPKS3_S8_PKT1_PKT2_PT3_PS3_PS5_21rocsparse_index_base_b: ; @_ZN9rocsparseL22coomvn_segmented_loopsILj256Eld21rocsparse_complex_numIdES2_S2_EEvlT0_NS_24const_host_device_scalarIT4_EEPKS3_S8_PKT1_PKT2_PT3_PS3_PS5_21rocsparse_index_base_b
; %bb.0:
	s_clause 0x1
	s_load_b64 s[14:15], s[0:1], 0x58
	s_load_b64 s[2:3], s[0:1], 0x10
	v_mov_b32_e32 v1, 0
	s_add_nc_u64 s[4:5], s[0:1], 16
	s_wait_kmcnt 0x0
	s_bitcmp1_b32 s15, 0
	s_cselect_b32 s3, s5, s3
	s_cselect_b32 s2, s4, s2
	flat_load_b128 v[2:5], v1, s[2:3]
	s_wait_loadcnt_dscnt 0x0
	v_cmp_neq_f64_e32 vcc_lo, 0, v[2:3]
	v_cmp_neq_f64_e64 s2, 0, v[4:5]
	s_or_b32 s2, vcc_lo, s2
	s_delay_alu instid0(SALU_CYCLE_1)
	s_and_saveexec_b32 s3, s2
	s_cbranch_execz .LBB88_87
; %bb.1:
	s_load_b128 s[24:27], s[0:1], 0x0
	s_bfe_u32 s2, ttmp6, 0x4000c
	s_load_b256 s[16:23], s[0:1], 0x20
	s_add_co_i32 s2, s2, 1
	s_and_b32 s3, ttmp6, 15
	s_mul_i32 s2, ttmp9, s2
	s_getreg_b32 s4, hwreg(HW_REG_IB_STS2, 6, 4)
	s_add_co_i32 s3, s3, s2
	v_mov_b64_e32 v[6:7], 0
	s_cmp_eq_u32 s4, 0
	s_mov_b32 s29, 0
	s_cselect_b32 s28, ttmp9, s3
	v_mov_b64_e32 v[10:11], -1
	s_delay_alu instid0(VALU_DEP_2) | instskip(SKIP_2) | instid1(SALU_CYCLE_1)
	v_mov_b64_e32 v[8:9], v[6:7]
	s_wait_kmcnt 0x0
	s_mul_u64 s[34:35], s[28:29], s[26:27]
	s_lshl_b64 s[2:3], s[34:35], 8
	s_delay_alu instid0(SALU_CYCLE_1) | instskip(SKIP_1) | instid1(VALU_DEP_1)
	v_dual_mov_b32 v13, s3 :: v_dual_bitop2_b32 v12, s2, v0 bitop3:0x54
	s_mov_b32 s2, exec_lo
	v_cmpx_gt_i64_e64 s[24:25], v[12:13]
	s_cbranch_execz .LBB88_3
; %bb.2:
	v_lshlrev_b64_e32 v[6:7], 3, v[12:13]
	s_mov_b32 s15, s29
	s_delay_alu instid0(VALU_DEP_1)
	v_add_nc_u64_e32 v[8:9], s[16:17], v[6:7]
	v_add_nc_u64_e32 v[10:11], s[18:19], v[6:7]
	v_add_nc_u64_e32 v[6:7], s[20:21], v[6:7]
	global_load_b64 v[14:15], v[8:9], off th:TH_LOAD_NT
	global_load_b64 v[16:17], v[10:11], off th:TH_LOAD_NT
	s_wait_loadcnt 0x1
	s_wait_xcnt 0x0
	v_sub_nc_u64_e64 v[10:11], v[14:15], s[14:15]
	s_wait_loadcnt 0x0
	v_lshl_add_u64 v[8:9], v[16:17], 4, s[22:23]
	s_ashr_i32 s15, s14, 31
	s_delay_alu instid0(SALU_CYCLE_1)
	s_lshl_b64 s[4:5], s[14:15], 4
	s_delay_alu instid0(VALU_DEP_1) | instid1(SALU_CYCLE_1)
	v_sub_nc_u64_e64 v[8:9], v[8:9], s[4:5]
	global_load_b128 v[14:17], v[8:9], off
	global_load_b64 v[18:19], v[6:7], off th:TH_LOAD_NT
	s_wait_loadcnt 0x1
	s_wait_xcnt 0x0
	v_mul_f64_e32 v[6:7], 0x80000000, v[16:17]
	s_wait_loadcnt 0x0
	v_mul_f64_e32 v[8:9], v[18:19], v[16:17]
	s_delay_alu instid0(VALU_DEP_2) | instskip(NEXT) | instid1(VALU_DEP_2)
	v_fmac_f64_e32 v[6:7], v[18:19], v[14:15]
	v_fmac_f64_e32 v[8:9], 0, v[14:15]
.LBB88_3:
	s_or_b32 exec_lo, exec_lo, s2
	v_dual_lshlrev_b32 v14, 3, v0 :: v_dual_lshlrev_b32 v1, 4, v0
	v_cmp_eq_u32_e64 s2, 0, v0
	v_cmp_ne_u32_e64 s3, 0, v0
	ds_store_b64 v14, v[10:11] offset:4096
	ds_store_b128 v1, v[6:9]
	v_or_b32_e32 v22, 0x1000, v14
	s_wait_dscnt 0x0
	s_barrier_signal -1
	s_barrier_wait -1
	s_delay_alu instid0(VALU_DEP_1)
	v_add_nc_u32_e32 v23, -8, v22
	s_and_saveexec_b32 s4, s3
	s_cbranch_execz .LBB88_7
; %bb.4:
	ds_load_b64 v[14:15], v23
	s_mov_b32 s5, exec_lo
	s_wait_dscnt 0x0
	v_cmpx_eq_u64_e64 v[10:11], v[14:15]
	s_cbranch_execz .LBB88_6
; %bb.5:
	v_add_nc_u32_e32 v14, -16, v1
	ds_load_b128 v[14:17], v14
	s_wait_dscnt 0x0
	v_add_f64_e32 v[6:7], v[6:7], v[14:15]
	v_add_f64_e32 v[8:9], v[8:9], v[16:17]
.LBB88_6:
	s_or_b32 exec_lo, exec_lo, s5
.LBB88_7:
	s_delay_alu instid0(SALU_CYCLE_1)
	s_or_b32 exec_lo, exec_lo, s4
	v_cmp_lt_u32_e64 s4, 1, v0
	v_add_nc_u32_e32 v24, -16, v22
	s_barrier_signal -1
	s_barrier_wait -1
	ds_store_b128 v1, v[6:9]
	s_wait_dscnt 0x0
	s_barrier_signal -1
	s_barrier_wait -1
	s_and_saveexec_b32 s5, s4
	s_cbranch_execz .LBB88_11
; %bb.8:
	ds_load_b64 v[14:15], v24
	s_mov_b32 s6, exec_lo
	s_wait_dscnt 0x0
	v_cmpx_eq_u64_e64 v[10:11], v[14:15]
	s_cbranch_execz .LBB88_10
; %bb.9:
	v_subrev_nc_u32_e32 v14, 32, v1
	ds_load_b128 v[14:17], v14
	s_wait_dscnt 0x0
	v_add_f64_e32 v[6:7], v[6:7], v[14:15]
	v_add_f64_e32 v[8:9], v[8:9], v[16:17]
.LBB88_10:
	s_or_b32 exec_lo, exec_lo, s6
.LBB88_11:
	s_delay_alu instid0(SALU_CYCLE_1)
	s_or_b32 exec_lo, exec_lo, s5
	v_cmp_lt_u32_e64 s5, 3, v0
	v_subrev_nc_u32_e32 v25, 32, v22
	s_barrier_signal -1
	s_barrier_wait -1
	ds_store_b128 v1, v[6:9]
	s_wait_dscnt 0x0
	s_barrier_signal -1
	s_barrier_wait -1
	s_and_saveexec_b32 s6, s5
	s_cbranch_execz .LBB88_15
; %bb.12:
	ds_load_b64 v[14:15], v25
	s_mov_b32 s7, exec_lo
	s_wait_dscnt 0x0
	v_cmpx_eq_u64_e64 v[10:11], v[14:15]
	s_cbranch_execz .LBB88_14
; %bb.13:
	v_subrev_nc_u32_e32 v14, 64, v1
	ds_load_b128 v[14:17], v14
	s_wait_dscnt 0x0
	v_add_f64_e32 v[6:7], v[6:7], v[14:15]
	v_add_f64_e32 v[8:9], v[8:9], v[16:17]
.LBB88_14:
	s_or_b32 exec_lo, exec_lo, s7
.LBB88_15:
	s_delay_alu instid0(SALU_CYCLE_1)
	s_or_b32 exec_lo, exec_lo, s6
	v_cmp_lt_u32_e64 s6, 7, v0
	v_subrev_nc_u32_e32 v26, 64, v22
	s_barrier_signal -1
	s_barrier_wait -1
	ds_store_b128 v1, v[6:9]
	s_wait_dscnt 0x0
	s_barrier_signal -1
	s_barrier_wait -1
	s_and_saveexec_b32 s7, s6
	s_cbranch_execz .LBB88_19
; %bb.16:
	ds_load_b64 v[14:15], v26
	s_mov_b32 s8, exec_lo
	s_wait_dscnt 0x0
	v_cmpx_eq_u64_e64 v[10:11], v[14:15]
	s_cbranch_execz .LBB88_18
; %bb.17:
	v_add_nc_u32_e32 v14, 0xffffff80, v1
	ds_load_b128 v[14:17], v14
	s_wait_dscnt 0x0
	v_add_f64_e32 v[6:7], v[6:7], v[14:15]
	v_add_f64_e32 v[8:9], v[8:9], v[16:17]
.LBB88_18:
	s_or_b32 exec_lo, exec_lo, s8
.LBB88_19:
	s_delay_alu instid0(SALU_CYCLE_1)
	s_or_b32 exec_lo, exec_lo, s7
	v_cmp_lt_u32_e64 s7, 15, v0
	v_add_nc_u32_e32 v27, 0xffffff80, v22
	s_barrier_signal -1
	s_barrier_wait -1
	ds_store_b128 v1, v[6:9]
	s_wait_dscnt 0x0
	s_barrier_signal -1
	s_barrier_wait -1
	s_and_saveexec_b32 s8, s7
	s_cbranch_execz .LBB88_23
; %bb.20:
	ds_load_b64 v[14:15], v27
	s_mov_b32 s9, exec_lo
	s_wait_dscnt 0x0
	v_cmpx_eq_u64_e64 v[10:11], v[14:15]
	s_cbranch_execz .LBB88_22
; %bb.21:
	v_add_nc_u32_e32 v14, 0xffffff00, v1
	ds_load_b128 v[14:17], v14
	s_wait_dscnt 0x0
	v_add_f64_e32 v[6:7], v[6:7], v[14:15]
	v_add_f64_e32 v[8:9], v[8:9], v[16:17]
.LBB88_22:
	s_or_b32 exec_lo, exec_lo, s9
.LBB88_23:
	s_delay_alu instid0(SALU_CYCLE_1)
	s_or_b32 exec_lo, exec_lo, s8
	v_cmp_lt_u32_e64 s8, 31, v0
	v_add_nc_u32_e32 v28, 0xffffff00, v22
	;; [unrolled: 27-line block ×4, first 2 shown]
	s_barrier_signal -1
	s_barrier_wait -1
	ds_store_b128 v1, v[6:9]
	s_wait_dscnt 0x0
	s_barrier_signal -1
	s_barrier_wait -1
	s_and_saveexec_b32 s11, s10
	s_cbranch_execz .LBB88_35
; %bb.32:
	ds_load_b64 v[14:15], v30
	s_mov_b32 s12, exec_lo
	s_wait_dscnt 0x0
	v_cmpx_eq_u64_e64 v[10:11], v[14:15]
	s_cbranch_execz .LBB88_34
; %bb.33:
	v_add_nc_u32_e32 v14, 0xfffff800, v1
	ds_load_b128 v[14:17], v14
	s_wait_dscnt 0x0
	v_add_f64_e32 v[6:7], v[6:7], v[14:15]
	v_add_f64_e32 v[8:9], v[8:9], v[16:17]
.LBB88_34:
	s_or_b32 exec_lo, exec_lo, s12
.LBB88_35:
	s_delay_alu instid0(SALU_CYCLE_1)
	s_or_b32 exec_lo, exec_lo, s11
	s_load_b64 s[30:31], s[0:1], 0x40
	v_cmp_gt_u32_e64 s11, 0xff, v0
	s_barrier_signal -1
	s_barrier_wait -1
	ds_store_b128 v1, v[6:9]
	s_wait_dscnt 0x0
	s_barrier_signal -1
	s_barrier_wait -1
	s_and_saveexec_b32 s13, s11
	s_cbranch_execz .LBB88_38
; %bb.36:
	ds_load_b64 v[14:15], v22 offset:8
	v_cmp_lt_i64_e64 s12, -1, v[10:11]
	s_wait_dscnt 0x0
	v_cmp_ne_u64_e32 vcc_lo, v[10:11], v[14:15]
	s_and_b32 s12, s12, vcc_lo
	s_delay_alu instid0(SALU_CYCLE_1)
	s_and_b32 exec_lo, exec_lo, s12
	s_cbranch_execz .LBB88_38
; %bb.37:
	s_wait_kmcnt 0x0
	v_lshl_add_u64 v[18:19], v[10:11], 4, s[30:31]
	global_load_b128 v[14:17], v[18:19], off
	s_wait_loadcnt 0x0
	v_fmac_f64_e32 v[14:15], v[2:3], v[6:7]
	v_fmac_f64_e32 v[16:17], v[4:5], v[6:7]
	s_delay_alu instid0(VALU_DEP_2) | instskip(NEXT) | instid1(VALU_DEP_2)
	v_fma_f64 v[14:15], -v[4:5], v[8:9], v[14:15]
	v_fmac_f64_e32 v[16:17], v[2:3], v[8:9]
	global_store_b128 v[18:19], v[14:17], off
.LBB88_38:
	s_wait_xcnt 0x0
	s_or_b32 exec_lo, exec_lo, s13
	v_cmp_lt_i64_e64 s12, s[26:27], 2
	s_and_b32 vcc_lo, exec_lo, s12
	s_cbranch_vccnz .LBB88_85
; %bb.39:
	s_lshl_b64 s[12:13], s[34:35], 11
	v_add_nc_u64_e32 v[12:13], 0x100, v[12:13]
	v_lshl_or_b32 v6, v0, 3, s12
	v_dual_mov_b32 v7, s13 :: v_dual_add_nc_u32 v31, -16, v1
	s_ashr_i32 s35, s14, 31
	s_mov_b32 s34, s14
	v_subrev_nc_u32_e32 v32, 32, v1
	s_delay_alu instid0(VALU_DEP_2)
	v_add_nc_u64_e32 v[6:7], 0x800, v[6:7]
	v_subrev_nc_u32_e32 v33, 64, v1
	v_dual_mov_b32 v39, 0 :: v_dual_add_nc_u32 v34, 0xffffff80, v1
	v_add_nc_u32_e32 v35, 0xffffff00, v1
	v_add_nc_u32_e32 v36, 0xfffffe00, v1
	;; [unrolled: 1-line block ×3, first 2 shown]
	v_add_nc_u64_e32 v[14:15], s[18:19], v[6:7]
	v_add_nc_u64_e32 v[16:17], s[20:21], v[6:7]
	;; [unrolled: 1-line block ×3, first 2 shown]
	v_add_nc_u32_e32 v38, 0xfffff800, v1
	s_lshl_b64 s[12:13], s[34:35], 4
	s_add_nc_u64 s[26:27], s[26:27], -1
	s_mov_b32 s15, 0
	s_sub_nc_u64 s[16:17], s[22:23], s[12:13]
	s_mov_b64 s[18:19], 0
	s_branch .LBB88_41
.LBB88_40:                              ;   in Loop: Header=BB88_41 Depth=1
	s_wait_xcnt 0x0
	s_or_b32 exec_lo, exec_lo, s13
	s_add_nc_u64 s[18:19], s[18:19], 1
	v_add_nc_u64_e32 v[14:15], 0x800, v[14:15]
	v_cmp_le_u64_e64 s12, s[26:27], s[18:19]
	v_add_nc_u64_e32 v[16:17], 0x800, v[16:17]
	v_add_nc_u64_e32 v[18:19], 0x800, v[18:19]
	;; [unrolled: 1-line block ×3, first 2 shown]
	s_and_b32 vcc_lo, exec_lo, s12
	s_cbranch_vccnz .LBB88_85
.LBB88_41:                              ; =>This Inner Loop Header: Depth=1
	v_mov_b64_e32 v[10:11], -1
	v_mov_b64_e32 v[6:7], 0
	v_mov_b64_e32 v[8:9], 0
	s_mov_b32 s12, exec_lo
	v_cmpx_gt_i64_e64 s[24:25], v[12:13]
	s_cbranch_execz .LBB88_43
; %bb.42:                               ;   in Loop: Header=BB88_41 Depth=1
	global_load_b64 v[6:7], v[14:15], off th:TH_LOAD_NT
	s_wait_loadcnt 0x0
	v_lshl_add_u64 v[6:7], v[6:7], 4, s[16:17]
	global_load_b128 v[40:43], v[6:7], off
	global_load_b64 v[10:11], v[16:17], off th:TH_LOAD_NT
	global_load_b64 v[20:21], v[18:19], off th:TH_LOAD_NT
	s_wait_loadcnt 0x2
	s_wait_xcnt 0x2
	v_mul_f64_e32 v[6:7], 0x80000000, v[42:43]
	s_wait_loadcnt 0x1
	v_mul_f64_e32 v[8:9], v[10:11], v[42:43]
	s_delay_alu instid0(VALU_DEP_2) | instskip(NEXT) | instid1(VALU_DEP_2)
	v_fmac_f64_e32 v[6:7], v[10:11], v[40:41]
	v_fmac_f64_e32 v[8:9], 0, v[40:41]
	s_wait_loadcnt 0x0
	v_sub_nc_u64_e64 v[10:11], v[20:21], s[14:15]
.LBB88_43:                              ;   in Loop: Header=BB88_41 Depth=1
	s_wait_xcnt 0x0
	s_or_b32 exec_lo, exec_lo, s12
	s_and_saveexec_b32 s12, s2
	s_cbranch_execz .LBB88_50
; %bb.44:                               ;   in Loop: Header=BB88_41 Depth=1
	ds_load_b64 v[20:21], v39 offset:6136
	s_mov_b32 s13, exec_lo
	s_wait_dscnt 0x0
	v_cmpx_ne_u64_e64 v[10:11], v[20:21]
	s_xor_b32 s13, exec_lo, s13
	s_cbranch_execz .LBB88_47
; %bb.45:                               ;   in Loop: Header=BB88_41 Depth=1
	v_cmp_gt_i64_e32 vcc_lo, 0, v[20:21]
	s_cbranch_vccnz .LBB88_47
; %bb.46:                               ;   in Loop: Header=BB88_41 Depth=1
	v_lshlrev_b64_e32 v[20:21], 4, v[20:21]
	ds_load_b128 v[44:47], v39 offset:4080
	s_wait_kmcnt 0x0
	v_add_nc_u64_e32 v[20:21], s[30:31], v[20:21]
	global_load_b128 v[40:43], v[20:21], off
	s_wait_loadcnt_dscnt 0x0
	v_fmac_f64_e32 v[40:41], v[2:3], v[44:45]
	v_fmac_f64_e32 v[42:43], v[4:5], v[44:45]
	s_delay_alu instid0(VALU_DEP_2) | instskip(NEXT) | instid1(VALU_DEP_2)
	v_fma_f64 v[40:41], -v[4:5], v[46:47], v[40:41]
	v_fmac_f64_e32 v[42:43], v[2:3], v[46:47]
	global_store_b128 v[20:21], v[40:43], off
.LBB88_47:                              ;   in Loop: Header=BB88_41 Depth=1
	s_wait_xcnt 0x0
	s_and_not1_saveexec_b32 s13, s13
	s_cbranch_execz .LBB88_49
; %bb.48:                               ;   in Loop: Header=BB88_41 Depth=1
	ds_load_b128 v[40:43], v39 offset:4080
	s_wait_dscnt 0x0
	v_add_f64_e32 v[6:7], v[6:7], v[40:41]
	v_add_f64_e32 v[8:9], v[8:9], v[42:43]
.LBB88_49:                              ;   in Loop: Header=BB88_41 Depth=1
	s_or_b32 exec_lo, exec_lo, s13
.LBB88_50:                              ;   in Loop: Header=BB88_41 Depth=1
	s_delay_alu instid0(SALU_CYCLE_1)
	s_or_b32 exec_lo, exec_lo, s12
	s_wait_storecnt 0x0
	s_barrier_signal -1
	s_barrier_wait -1
	ds_store_b64 v22, v[10:11]
	ds_store_b128 v1, v[6:9]
	s_wait_dscnt 0x0
	s_barrier_signal -1
	s_barrier_wait -1
	s_and_saveexec_b32 s12, s3
	s_cbranch_execz .LBB88_54
; %bb.51:                               ;   in Loop: Header=BB88_41 Depth=1
	ds_load_b64 v[20:21], v23
	s_mov_b32 s13, exec_lo
	s_wait_dscnt 0x0
	v_cmpx_eq_u64_e64 v[10:11], v[20:21]
	s_cbranch_execz .LBB88_53
; %bb.52:                               ;   in Loop: Header=BB88_41 Depth=1
	ds_load_b128 v[40:43], v31
	s_wait_dscnt 0x0
	v_add_f64_e32 v[6:7], v[6:7], v[40:41]
	v_add_f64_e32 v[8:9], v[8:9], v[42:43]
.LBB88_53:                              ;   in Loop: Header=BB88_41 Depth=1
	s_or_b32 exec_lo, exec_lo, s13
.LBB88_54:                              ;   in Loop: Header=BB88_41 Depth=1
	s_delay_alu instid0(SALU_CYCLE_1)
	s_or_b32 exec_lo, exec_lo, s12
	s_barrier_signal -1
	s_barrier_wait -1
	ds_store_b128 v1, v[6:9]
	s_wait_dscnt 0x0
	s_barrier_signal -1
	s_barrier_wait -1
	s_and_saveexec_b32 s12, s4
	s_cbranch_execz .LBB88_58
; %bb.55:                               ;   in Loop: Header=BB88_41 Depth=1
	ds_load_b64 v[20:21], v24
	s_mov_b32 s13, exec_lo
	s_wait_dscnt 0x0
	v_cmpx_eq_u64_e64 v[10:11], v[20:21]
	s_cbranch_execz .LBB88_57
; %bb.56:                               ;   in Loop: Header=BB88_41 Depth=1
	ds_load_b128 v[40:43], v32
	s_wait_dscnt 0x0
	v_add_f64_e32 v[6:7], v[6:7], v[40:41]
	v_add_f64_e32 v[8:9], v[8:9], v[42:43]
.LBB88_57:                              ;   in Loop: Header=BB88_41 Depth=1
	s_or_b32 exec_lo, exec_lo, s13
.LBB88_58:                              ;   in Loop: Header=BB88_41 Depth=1
	s_delay_alu instid0(SALU_CYCLE_1)
	s_or_b32 exec_lo, exec_lo, s12
	s_barrier_signal -1
	s_barrier_wait -1
	;; [unrolled: 24-line block ×8, first 2 shown]
	ds_store_b128 v1, v[6:9]
	s_wait_dscnt 0x0
	s_barrier_signal -1
	s_barrier_wait -1
	s_and_saveexec_b32 s13, s11
	s_cbranch_execz .LBB88_40
; %bb.83:                               ;   in Loop: Header=BB88_41 Depth=1
	ds_load_b64 v[20:21], v22 offset:8
	v_cmp_lt_i64_e64 s12, -1, v[10:11]
	s_wait_dscnt 0x0
	v_cmp_ne_u64_e32 vcc_lo, v[10:11], v[20:21]
	s_and_b32 s12, s12, vcc_lo
	s_delay_alu instid0(SALU_CYCLE_1)
	s_and_b32 exec_lo, exec_lo, s12
	s_cbranch_execz .LBB88_40
; %bb.84:                               ;   in Loop: Header=BB88_41 Depth=1
	s_wait_kmcnt 0x0
	v_lshl_add_u64 v[20:21], v[10:11], 4, s[30:31]
	global_load_b128 v[40:43], v[20:21], off
	s_wait_loadcnt 0x0
	v_fmac_f64_e32 v[40:41], v[2:3], v[6:7]
	v_fmac_f64_e32 v[42:43], v[4:5], v[6:7]
	s_delay_alu instid0(VALU_DEP_2) | instskip(NEXT) | instid1(VALU_DEP_2)
	v_fma_f64 v[40:41], -v[4:5], v[8:9], v[40:41]
	v_fmac_f64_e32 v[42:43], v[2:3], v[8:9]
	global_store_b128 v[20:21], v[40:43], off
	s_branch .LBB88_40
.LBB88_85:
	s_load_b128 s[0:3], s[0:1], 0x48
	v_cmp_eq_u32_e32 vcc_lo, 0xff, v0
	s_and_b32 exec_lo, exec_lo, vcc_lo
	s_cbranch_execz .LBB88_87
; %bb.86:
	v_dual_mul_f64 v[12:13], v[8:9], -v[4:5] :: v_dual_mov_b32 v0, 0
	v_mul_f64_e32 v[14:15], v[2:3], v[8:9]
	s_lshl_b64 s[4:5], s[28:29], 3
	s_lshl_b64 s[6:7], s[28:29], 4
	s_wait_kmcnt 0x0
	s_add_nc_u64 s[0:1], s[0:1], s[4:5]
	s_add_nc_u64 s[2:3], s[2:3], s[6:7]
	s_delay_alu instid0(VALU_DEP_2) | instskip(NEXT) | instid1(VALU_DEP_2)
	v_fmac_f64_e32 v[12:13], v[2:3], v[6:7]
	v_fmac_f64_e32 v[14:15], v[4:5], v[6:7]
	s_clause 0x1
	global_store_b64 v0, v[10:11], s[0:1] th:TH_STORE_NT
	global_store_b128 v0, v[12:15], s[2:3] th:TH_STORE_NT
.LBB88_87:
	s_endpgm
	.section	.rodata,"a",@progbits
	.p2align	6, 0x0
	.amdhsa_kernel _ZN9rocsparseL22coomvn_segmented_loopsILj256Eld21rocsparse_complex_numIdES2_S2_EEvlT0_NS_24const_host_device_scalarIT4_EEPKS3_S8_PKT1_PKT2_PT3_PS3_PS5_21rocsparse_index_base_b
		.amdhsa_group_segment_fixed_size 6144
		.amdhsa_private_segment_fixed_size 0
		.amdhsa_kernarg_size 96
		.amdhsa_user_sgpr_count 2
		.amdhsa_user_sgpr_dispatch_ptr 0
		.amdhsa_user_sgpr_queue_ptr 0
		.amdhsa_user_sgpr_kernarg_segment_ptr 1
		.amdhsa_user_sgpr_dispatch_id 0
		.amdhsa_user_sgpr_kernarg_preload_length 0
		.amdhsa_user_sgpr_kernarg_preload_offset 0
		.amdhsa_user_sgpr_private_segment_size 0
		.amdhsa_wavefront_size32 1
		.amdhsa_uses_dynamic_stack 0
		.amdhsa_enable_private_segment 0
		.amdhsa_system_sgpr_workgroup_id_x 1
		.amdhsa_system_sgpr_workgroup_id_y 0
		.amdhsa_system_sgpr_workgroup_id_z 0
		.amdhsa_system_sgpr_workgroup_info 0
		.amdhsa_system_vgpr_workitem_id 0
		.amdhsa_next_free_vgpr 48
		.amdhsa_next_free_sgpr 36
		.amdhsa_named_barrier_count 0
		.amdhsa_reserve_vcc 1
		.amdhsa_float_round_mode_32 0
		.amdhsa_float_round_mode_16_64 0
		.amdhsa_float_denorm_mode_32 3
		.amdhsa_float_denorm_mode_16_64 3
		.amdhsa_fp16_overflow 0
		.amdhsa_memory_ordered 1
		.amdhsa_forward_progress 1
		.amdhsa_inst_pref_size 24
		.amdhsa_round_robin_scheduling 0
		.amdhsa_exception_fp_ieee_invalid_op 0
		.amdhsa_exception_fp_denorm_src 0
		.amdhsa_exception_fp_ieee_div_zero 0
		.amdhsa_exception_fp_ieee_overflow 0
		.amdhsa_exception_fp_ieee_underflow 0
		.amdhsa_exception_fp_ieee_inexact 0
		.amdhsa_exception_int_div_zero 0
	.end_amdhsa_kernel
	.section	.text._ZN9rocsparseL22coomvn_segmented_loopsILj256Eld21rocsparse_complex_numIdES2_S2_EEvlT0_NS_24const_host_device_scalarIT4_EEPKS3_S8_PKT1_PKT2_PT3_PS3_PS5_21rocsparse_index_base_b,"axG",@progbits,_ZN9rocsparseL22coomvn_segmented_loopsILj256Eld21rocsparse_complex_numIdES2_S2_EEvlT0_NS_24const_host_device_scalarIT4_EEPKS3_S8_PKT1_PKT2_PT3_PS3_PS5_21rocsparse_index_base_b,comdat
.Lfunc_end88:
	.size	_ZN9rocsparseL22coomvn_segmented_loopsILj256Eld21rocsparse_complex_numIdES2_S2_EEvlT0_NS_24const_host_device_scalarIT4_EEPKS3_S8_PKT1_PKT2_PT3_PS3_PS5_21rocsparse_index_base_b, .Lfunc_end88-_ZN9rocsparseL22coomvn_segmented_loopsILj256Eld21rocsparse_complex_numIdES2_S2_EEvlT0_NS_24const_host_device_scalarIT4_EEPKS3_S8_PKT1_PKT2_PT3_PS3_PS5_21rocsparse_index_base_b
                                        ; -- End function
	.set _ZN9rocsparseL22coomvn_segmented_loopsILj256Eld21rocsparse_complex_numIdES2_S2_EEvlT0_NS_24const_host_device_scalarIT4_EEPKS3_S8_PKT1_PKT2_PT3_PS3_PS5_21rocsparse_index_base_b.num_vgpr, 48
	.set _ZN9rocsparseL22coomvn_segmented_loopsILj256Eld21rocsparse_complex_numIdES2_S2_EEvlT0_NS_24const_host_device_scalarIT4_EEPKS3_S8_PKT1_PKT2_PT3_PS3_PS5_21rocsparse_index_base_b.num_agpr, 0
	.set _ZN9rocsparseL22coomvn_segmented_loopsILj256Eld21rocsparse_complex_numIdES2_S2_EEvlT0_NS_24const_host_device_scalarIT4_EEPKS3_S8_PKT1_PKT2_PT3_PS3_PS5_21rocsparse_index_base_b.numbered_sgpr, 36
	.set _ZN9rocsparseL22coomvn_segmented_loopsILj256Eld21rocsparse_complex_numIdES2_S2_EEvlT0_NS_24const_host_device_scalarIT4_EEPKS3_S8_PKT1_PKT2_PT3_PS3_PS5_21rocsparse_index_base_b.num_named_barrier, 0
	.set _ZN9rocsparseL22coomvn_segmented_loopsILj256Eld21rocsparse_complex_numIdES2_S2_EEvlT0_NS_24const_host_device_scalarIT4_EEPKS3_S8_PKT1_PKT2_PT3_PS3_PS5_21rocsparse_index_base_b.private_seg_size, 0
	.set _ZN9rocsparseL22coomvn_segmented_loopsILj256Eld21rocsparse_complex_numIdES2_S2_EEvlT0_NS_24const_host_device_scalarIT4_EEPKS3_S8_PKT1_PKT2_PT3_PS3_PS5_21rocsparse_index_base_b.uses_vcc, 1
	.set _ZN9rocsparseL22coomvn_segmented_loopsILj256Eld21rocsparse_complex_numIdES2_S2_EEvlT0_NS_24const_host_device_scalarIT4_EEPKS3_S8_PKT1_PKT2_PT3_PS3_PS5_21rocsparse_index_base_b.uses_flat_scratch, 0
	.set _ZN9rocsparseL22coomvn_segmented_loopsILj256Eld21rocsparse_complex_numIdES2_S2_EEvlT0_NS_24const_host_device_scalarIT4_EEPKS3_S8_PKT1_PKT2_PT3_PS3_PS5_21rocsparse_index_base_b.has_dyn_sized_stack, 0
	.set _ZN9rocsparseL22coomvn_segmented_loopsILj256Eld21rocsparse_complex_numIdES2_S2_EEvlT0_NS_24const_host_device_scalarIT4_EEPKS3_S8_PKT1_PKT2_PT3_PS3_PS5_21rocsparse_index_base_b.has_recursion, 0
	.set _ZN9rocsparseL22coomvn_segmented_loopsILj256Eld21rocsparse_complex_numIdES2_S2_EEvlT0_NS_24const_host_device_scalarIT4_EEPKS3_S8_PKT1_PKT2_PT3_PS3_PS5_21rocsparse_index_base_b.has_indirect_call, 0
	.section	.AMDGPU.csdata,"",@progbits
; Kernel info:
; codeLenInByte = 3056
; TotalNumSgprs: 38
; NumVgprs: 48
; ScratchSize: 0
; MemoryBound: 1
; FloatMode: 240
; IeeeMode: 1
; LDSByteSize: 6144 bytes/workgroup (compile time only)
; SGPRBlocks: 0
; VGPRBlocks: 2
; NumSGPRsForWavesPerEU: 38
; NumVGPRsForWavesPerEU: 48
; NamedBarCnt: 0
; Occupancy: 16
; WaveLimiterHint : 1
; COMPUTE_PGM_RSRC2:SCRATCH_EN: 0
; COMPUTE_PGM_RSRC2:USER_SGPR: 2
; COMPUTE_PGM_RSRC2:TRAP_HANDLER: 0
; COMPUTE_PGM_RSRC2:TGID_X_EN: 1
; COMPUTE_PGM_RSRC2:TGID_Y_EN: 0
; COMPUTE_PGM_RSRC2:TGID_Z_EN: 0
; COMPUTE_PGM_RSRC2:TIDIG_COMP_CNT: 0
	.section	.text._ZN9rocsparseL13coomvt_kernelILj1024Eld21rocsparse_complex_numIdES2_S2_EEv20rocsparse_operation_lNS_24const_host_device_scalarIT4_EEPKT0_S9_PKT1_PKT2_PT3_21rocsparse_index_base_b,"axG",@progbits,_ZN9rocsparseL13coomvt_kernelILj1024Eld21rocsparse_complex_numIdES2_S2_EEv20rocsparse_operation_lNS_24const_host_device_scalarIT4_EEPKT0_S9_PKT1_PKT2_PT3_21rocsparse_index_base_b,comdat
	.globl	_ZN9rocsparseL13coomvt_kernelILj1024Eld21rocsparse_complex_numIdES2_S2_EEv20rocsparse_operation_lNS_24const_host_device_scalarIT4_EEPKT0_S9_PKT1_PKT2_PT3_21rocsparse_index_base_b ; -- Begin function _ZN9rocsparseL13coomvt_kernelILj1024Eld21rocsparse_complex_numIdES2_S2_EEv20rocsparse_operation_lNS_24const_host_device_scalarIT4_EEPKT0_S9_PKT1_PKT2_PT3_21rocsparse_index_base_b
	.p2align	8
	.type	_ZN9rocsparseL13coomvt_kernelILj1024Eld21rocsparse_complex_numIdES2_S2_EEv20rocsparse_operation_lNS_24const_host_device_scalarIT4_EEPKT0_S9_PKT1_PKT2_PT3_21rocsparse_index_base_b,@function
_ZN9rocsparseL13coomvt_kernelILj1024Eld21rocsparse_complex_numIdES2_S2_EEv20rocsparse_operation_lNS_24const_host_device_scalarIT4_EEPKT0_S9_PKT1_PKT2_PT3_21rocsparse_index_base_b: ; @_ZN9rocsparseL13coomvt_kernelILj1024Eld21rocsparse_complex_numIdES2_S2_EEv20rocsparse_operation_lNS_24const_host_device_scalarIT4_EEPKT0_S9_PKT1_PKT2_PT3_21rocsparse_index_base_b
; %bb.0:
	s_clause 0x1
	s_load_b64 s[8:9], s[0:1], 0x48
	s_load_b128 s[4:7], s[0:1], 0x8
	v_mov_b32_e32 v1, 0
	s_add_nc_u64 s[2:3], s[0:1], 16
	s_wait_kmcnt 0x0
	s_bitcmp1_b32 s9, 0
	s_cselect_b32 s3, s3, s7
	s_cselect_b32 s2, s2, s6
	flat_load_b128 v[2:5], v1, s[2:3]
	s_wait_loadcnt_dscnt 0x0
	v_cmp_neq_f64_e32 vcc_lo, 0, v[2:3]
	v_cmp_neq_f64_e64 s2, 0, v[4:5]
	s_or_b32 s2, vcc_lo, s2
	s_delay_alu instid0(SALU_CYCLE_1)
	s_and_saveexec_b32 s3, s2
	s_cbranch_execz .LBB89_3
; %bb.1:
	s_load_b32 s2, s[0:1], 0x5c
	s_bfe_u32 s3, ttmp6, 0x4000c
	s_and_b32 s6, ttmp6, 15
	s_add_co_i32 s3, s3, 1
	s_getreg_b32 s7, hwreg(HW_REG_IB_STS2, 6, 4)
	s_mul_i32 s3, ttmp9, s3
	s_mov_b32 s9, 0
	s_add_co_i32 s6, s6, s3
	s_wait_kmcnt 0x0
	s_and_b32 s2, s2, 0xffff
	s_cmp_eq_u32 s7, 0
	s_cselect_b32 s3, ttmp9, s6
	s_delay_alu instid0(SALU_CYCLE_1) | instskip(NEXT) | instid1(VALU_DEP_1)
	v_mad_u32 v0, s3, s2, v0
	v_cmp_gt_i64_e32 vcc_lo, s[4:5], v[0:1]
	s_and_b32 exec_lo, exec_lo, vcc_lo
	s_cbranch_execz .LBB89_3
; %bb.2:
	s_load_b256 s[12:19], s[0:1], 0x20
	v_lshlrev_b64_e32 v[0:1], 3, v[0:1]
	v_mul_f64_e32 v[12:13], 0, v[2:3]
	v_mul_f64_e32 v[14:15], 0x80000000, v[4:5]
	s_wait_xcnt 0x0
	s_load_b64 s[0:1], s[0:1], 0x40
	s_wait_kmcnt 0x0
	s_delay_alu instid0(VALU_DEP_3)
	v_add_nc_u64_e32 v[6:7], s[12:13], v[0:1]
	v_add_nc_u64_e32 v[8:9], s[16:17], v[0:1]
	;; [unrolled: 1-line block ×3, first 2 shown]
	global_load_b64 v[6:7], v[6:7], off
	global_load_b64 v[10:11], v[8:9], off
	;; [unrolled: 1-line block ×3, first 2 shown]
	s_wait_loadcnt 0x2
	s_wait_xcnt 0x2
	v_sub_nc_u64_e64 v[6:7], v[6:7], s[8:9]
	s_wait_loadcnt 0x1
	v_fmac_f64_e32 v[12:13], v[4:5], v[10:11]
	v_fmac_f64_e32 v[14:15], v[2:3], v[10:11]
	s_wait_loadcnt 0x0
	v_sub_nc_u64_e64 v[0:1], v[0:1], s[8:9]
	s_delay_alu instid0(VALU_DEP_4) | instskip(NEXT) | instid1(VALU_DEP_2)
	v_lshl_add_u64 v[6:7], v[6:7], 4, s[18:19]
	v_lshl_add_u64 v[0:1], v[0:1], 4, s[0:1]
	global_load_b128 v[6:9], v[6:7], off
	s_wait_loadcnt 0x0
	v_mul_f64_e64 v[2:3], v[8:9], -v[12:13]
	v_mul_f64_e32 v[4:5], v[14:15], v[8:9]
	s_delay_alu instid0(VALU_DEP_2) | instskip(NEXT) | instid1(VALU_DEP_2)
	v_fmac_f64_e32 v[2:3], v[14:15], v[6:7]
	v_fmac_f64_e32 v[4:5], v[12:13], v[6:7]
	global_atomic_add_f64 v[0:1], v[2:3], off scope:SCOPE_DEV
	s_wait_xcnt 0x0
	global_atomic_add_f64 v[0:1], v[4:5], off offset:8 scope:SCOPE_DEV
.LBB89_3:
	s_endpgm
	.section	.rodata,"a",@progbits
	.p2align	6, 0x0
	.amdhsa_kernel _ZN9rocsparseL13coomvt_kernelILj1024Eld21rocsparse_complex_numIdES2_S2_EEv20rocsparse_operation_lNS_24const_host_device_scalarIT4_EEPKT0_S9_PKT1_PKT2_PT3_21rocsparse_index_base_b
		.amdhsa_group_segment_fixed_size 0
		.amdhsa_private_segment_fixed_size 0
		.amdhsa_kernarg_size 336
		.amdhsa_user_sgpr_count 2
		.amdhsa_user_sgpr_dispatch_ptr 0
		.amdhsa_user_sgpr_queue_ptr 0
		.amdhsa_user_sgpr_kernarg_segment_ptr 1
		.amdhsa_user_sgpr_dispatch_id 0
		.amdhsa_user_sgpr_kernarg_preload_length 0
		.amdhsa_user_sgpr_kernarg_preload_offset 0
		.amdhsa_user_sgpr_private_segment_size 0
		.amdhsa_wavefront_size32 1
		.amdhsa_uses_dynamic_stack 0
		.amdhsa_enable_private_segment 0
		.amdhsa_system_sgpr_workgroup_id_x 1
		.amdhsa_system_sgpr_workgroup_id_y 0
		.amdhsa_system_sgpr_workgroup_id_z 0
		.amdhsa_system_sgpr_workgroup_info 0
		.amdhsa_system_vgpr_workitem_id 0
		.amdhsa_next_free_vgpr 16
		.amdhsa_next_free_sgpr 20
		.amdhsa_named_barrier_count 0
		.amdhsa_reserve_vcc 1
		.amdhsa_float_round_mode_32 0
		.amdhsa_float_round_mode_16_64 0
		.amdhsa_float_denorm_mode_32 3
		.amdhsa_float_denorm_mode_16_64 3
		.amdhsa_fp16_overflow 0
		.amdhsa_memory_ordered 1
		.amdhsa_forward_progress 1
		.amdhsa_inst_pref_size 4
		.amdhsa_round_robin_scheduling 0
		.amdhsa_exception_fp_ieee_invalid_op 0
		.amdhsa_exception_fp_denorm_src 0
		.amdhsa_exception_fp_ieee_div_zero 0
		.amdhsa_exception_fp_ieee_overflow 0
		.amdhsa_exception_fp_ieee_underflow 0
		.amdhsa_exception_fp_ieee_inexact 0
		.amdhsa_exception_int_div_zero 0
	.end_amdhsa_kernel
	.section	.text._ZN9rocsparseL13coomvt_kernelILj1024Eld21rocsparse_complex_numIdES2_S2_EEv20rocsparse_operation_lNS_24const_host_device_scalarIT4_EEPKT0_S9_PKT1_PKT2_PT3_21rocsparse_index_base_b,"axG",@progbits,_ZN9rocsparseL13coomvt_kernelILj1024Eld21rocsparse_complex_numIdES2_S2_EEv20rocsparse_operation_lNS_24const_host_device_scalarIT4_EEPKT0_S9_PKT1_PKT2_PT3_21rocsparse_index_base_b,comdat
.Lfunc_end89:
	.size	_ZN9rocsparseL13coomvt_kernelILj1024Eld21rocsparse_complex_numIdES2_S2_EEv20rocsparse_operation_lNS_24const_host_device_scalarIT4_EEPKT0_S9_PKT1_PKT2_PT3_21rocsparse_index_base_b, .Lfunc_end89-_ZN9rocsparseL13coomvt_kernelILj1024Eld21rocsparse_complex_numIdES2_S2_EEv20rocsparse_operation_lNS_24const_host_device_scalarIT4_EEPKT0_S9_PKT1_PKT2_PT3_21rocsparse_index_base_b
                                        ; -- End function
	.set _ZN9rocsparseL13coomvt_kernelILj1024Eld21rocsparse_complex_numIdES2_S2_EEv20rocsparse_operation_lNS_24const_host_device_scalarIT4_EEPKT0_S9_PKT1_PKT2_PT3_21rocsparse_index_base_b.num_vgpr, 16
	.set _ZN9rocsparseL13coomvt_kernelILj1024Eld21rocsparse_complex_numIdES2_S2_EEv20rocsparse_operation_lNS_24const_host_device_scalarIT4_EEPKT0_S9_PKT1_PKT2_PT3_21rocsparse_index_base_b.num_agpr, 0
	.set _ZN9rocsparseL13coomvt_kernelILj1024Eld21rocsparse_complex_numIdES2_S2_EEv20rocsparse_operation_lNS_24const_host_device_scalarIT4_EEPKT0_S9_PKT1_PKT2_PT3_21rocsparse_index_base_b.numbered_sgpr, 20
	.set _ZN9rocsparseL13coomvt_kernelILj1024Eld21rocsparse_complex_numIdES2_S2_EEv20rocsparse_operation_lNS_24const_host_device_scalarIT4_EEPKT0_S9_PKT1_PKT2_PT3_21rocsparse_index_base_b.num_named_barrier, 0
	.set _ZN9rocsparseL13coomvt_kernelILj1024Eld21rocsparse_complex_numIdES2_S2_EEv20rocsparse_operation_lNS_24const_host_device_scalarIT4_EEPKT0_S9_PKT1_PKT2_PT3_21rocsparse_index_base_b.private_seg_size, 0
	.set _ZN9rocsparseL13coomvt_kernelILj1024Eld21rocsparse_complex_numIdES2_S2_EEv20rocsparse_operation_lNS_24const_host_device_scalarIT4_EEPKT0_S9_PKT1_PKT2_PT3_21rocsparse_index_base_b.uses_vcc, 1
	.set _ZN9rocsparseL13coomvt_kernelILj1024Eld21rocsparse_complex_numIdES2_S2_EEv20rocsparse_operation_lNS_24const_host_device_scalarIT4_EEPKT0_S9_PKT1_PKT2_PT3_21rocsparse_index_base_b.uses_flat_scratch, 0
	.set _ZN9rocsparseL13coomvt_kernelILj1024Eld21rocsparse_complex_numIdES2_S2_EEv20rocsparse_operation_lNS_24const_host_device_scalarIT4_EEPKT0_S9_PKT1_PKT2_PT3_21rocsparse_index_base_b.has_dyn_sized_stack, 0
	.set _ZN9rocsparseL13coomvt_kernelILj1024Eld21rocsparse_complex_numIdES2_S2_EEv20rocsparse_operation_lNS_24const_host_device_scalarIT4_EEPKT0_S9_PKT1_PKT2_PT3_21rocsparse_index_base_b.has_recursion, 0
	.set _ZN9rocsparseL13coomvt_kernelILj1024Eld21rocsparse_complex_numIdES2_S2_EEv20rocsparse_operation_lNS_24const_host_device_scalarIT4_EEPKT0_S9_PKT1_PKT2_PT3_21rocsparse_index_base_b.has_indirect_call, 0
	.section	.AMDGPU.csdata,"",@progbits
; Kernel info:
; codeLenInByte = 396
; TotalNumSgprs: 22
; NumVgprs: 16
; ScratchSize: 0
; MemoryBound: 0
; FloatMode: 240
; IeeeMode: 1
; LDSByteSize: 0 bytes/workgroup (compile time only)
; SGPRBlocks: 0
; VGPRBlocks: 0
; NumSGPRsForWavesPerEU: 22
; NumVGPRsForWavesPerEU: 16
; NamedBarCnt: 0
; Occupancy: 16
; WaveLimiterHint : 1
; COMPUTE_PGM_RSRC2:SCRATCH_EN: 0
; COMPUTE_PGM_RSRC2:USER_SGPR: 2
; COMPUTE_PGM_RSRC2:TRAP_HANDLER: 0
; COMPUTE_PGM_RSRC2:TGID_X_EN: 1
; COMPUTE_PGM_RSRC2:TGID_Y_EN: 0
; COMPUTE_PGM_RSRC2:TGID_Z_EN: 0
; COMPUTE_PGM_RSRC2:TIDIG_COMP_CNT: 0
	.section	.text._ZN9rocsparseL19coomvn_atomic_loopsILj256ELj1Eld21rocsparse_complex_numIdES2_S2_EEvlNS_24const_host_device_scalarIT5_EEPKT1_S8_PKT2_PKT3_PT4_21rocsparse_index_base_b,"axG",@progbits,_ZN9rocsparseL19coomvn_atomic_loopsILj256ELj1Eld21rocsparse_complex_numIdES2_S2_EEvlNS_24const_host_device_scalarIT5_EEPKT1_S8_PKT2_PKT3_PT4_21rocsparse_index_base_b,comdat
	.globl	_ZN9rocsparseL19coomvn_atomic_loopsILj256ELj1Eld21rocsparse_complex_numIdES2_S2_EEvlNS_24const_host_device_scalarIT5_EEPKT1_S8_PKT2_PKT3_PT4_21rocsparse_index_base_b ; -- Begin function _ZN9rocsparseL19coomvn_atomic_loopsILj256ELj1Eld21rocsparse_complex_numIdES2_S2_EEvlNS_24const_host_device_scalarIT5_EEPKT1_S8_PKT2_PKT3_PT4_21rocsparse_index_base_b
	.p2align	8
	.type	_ZN9rocsparseL19coomvn_atomic_loopsILj256ELj1Eld21rocsparse_complex_numIdES2_S2_EEvlNS_24const_host_device_scalarIT5_EEPKT1_S8_PKT2_PKT3_PT4_21rocsparse_index_base_b,@function
_ZN9rocsparseL19coomvn_atomic_loopsILj256ELj1Eld21rocsparse_complex_numIdES2_S2_EEvlNS_24const_host_device_scalarIT5_EEPKT1_S8_PKT2_PKT3_PT4_21rocsparse_index_base_b: ; @_ZN9rocsparseL19coomvn_atomic_loopsILj256ELj1Eld21rocsparse_complex_numIdES2_S2_EEvlNS_24const_host_device_scalarIT5_EEPKT1_S8_PKT2_PKT3_PT4_21rocsparse_index_base_b
; %bb.0:
	s_clause 0x1
	s_load_b64 s[8:9], s[0:1], 0x40
	s_load_b128 s[4:7], s[0:1], 0x0
	v_mov_b32_e32 v13, 0
	s_or_b64 s[2:3], s[0:1], 8
	s_wait_kmcnt 0x0
	s_bitcmp1_b32 s9, 0
	s_cselect_b32 s3, s3, s7
	s_cselect_b32 s2, s2, s6
	flat_load_b128 v[2:5], v13, s[2:3]
	s_wait_loadcnt_dscnt 0x0
	v_cmp_neq_f64_e32 vcc_lo, 0, v[2:3]
	v_cmp_neq_f64_e64 s2, 0, v[4:5]
	s_or_b32 s2, vcc_lo, s2
	s_delay_alu instid0(SALU_CYCLE_1)
	s_and_saveexec_b32 s3, s2
	s_cbranch_execz .LBB90_40
; %bb.1:
	s_bfe_u32 s2, ttmp6, 0x4000c
	v_mov_b64_e32 v[6:7], 0
	s_add_co_i32 s2, s2, 1
	s_and_b32 s3, ttmp6, 15
	s_mul_i32 s2, ttmp9, s2
	s_getreg_b32 s6, hwreg(HW_REG_IB_STS2, 6, 4)
	s_add_co_i32 s3, s3, s2
	s_cmp_eq_u32 s6, 0
	v_mov_b64_e32 v[10:11], -1
	s_cselect_b32 s2, ttmp9, s3
	v_mov_b64_e32 v[8:9], v[6:7]
	v_lshl_or_b32 v12, s2, 8, v0
	s_mov_b32 s9, 0
	s_mov_b32 s2, exec_lo
	s_delay_alu instid0(VALU_DEP_1)
	v_cmpx_gt_i64_e64 s[4:5], v[12:13]
	s_cbranch_execz .LBB90_3
; %bb.2:
	s_load_b256 s[12:19], s[0:1], 0x18
	v_lshlrev_b64_e32 v[6:7], 3, v[12:13]
	s_wait_kmcnt 0x0
	s_delay_alu instid0(VALU_DEP_1)
	v_add_nc_u64_e32 v[8:9], s[14:15], v[6:7]
	v_add_nc_u64_e32 v[14:15], s[16:17], v[6:7]
	;; [unrolled: 1-line block ×3, first 2 shown]
	global_load_b64 v[8:9], v[8:9], off th:TH_LOAD_NT
	s_wait_loadcnt 0x0
	v_sub_nc_u64_e64 v[8:9], v[8:9], s[8:9]
	s_delay_alu instid0(VALU_DEP_1)
	v_lshl_add_u64 v[8:9], v[8:9], 4, s[18:19]
	global_load_b128 v[10:13], v[8:9], off
	global_load_b64 v[16:17], v[14:15], off th:TH_LOAD_NT
	global_load_b64 v[14:15], v[6:7], off th:TH_LOAD_NT
	s_wait_loadcnt 0x2
	s_wait_xcnt 0x0
	v_mul_f64_e32 v[6:7], 0x80000000, v[12:13]
	s_wait_loadcnt 0x1
	v_mul_f64_e32 v[8:9], v[16:17], v[12:13]
	s_delay_alu instid0(VALU_DEP_2) | instskip(NEXT) | instid1(VALU_DEP_2)
	v_fmac_f64_e32 v[6:7], v[16:17], v[10:11]
	v_fmac_f64_e32 v[8:9], 0, v[10:11]
	s_wait_loadcnt 0x0
	v_sub_nc_u64_e64 v[10:11], v[14:15], s[8:9]
.LBB90_3:
	s_or_b32 exec_lo, exec_lo, s2
	v_dual_lshlrev_b32 v13, 3, v0 :: v_dual_lshlrev_b32 v12, 4, v0
	s_mov_b32 s2, exec_lo
	ds_store_b64 v13, v[10:11] offset:4096
	ds_store_b128 v12, v[6:9]
	v_or_b32_e32 v1, 0x1000, v13
	s_wait_dscnt 0x0
	s_barrier_signal -1
	s_barrier_wait -1
	v_cmpx_ne_u32_e32 0, v0
	s_cbranch_execz .LBB90_7
; %bb.4:
	v_add_nc_u32_e32 v13, -8, v1
	s_mov_b32 s3, exec_lo
	ds_load_b64 v[14:15], v13
	s_wait_dscnt 0x0
	v_cmpx_eq_u64_e64 v[10:11], v[14:15]
	s_cbranch_execz .LBB90_6
; %bb.5:
	v_add_nc_u32_e32 v13, -16, v12
	ds_load_b128 v[14:17], v13
	s_wait_dscnt 0x0
	v_add_f64_e32 v[6:7], v[6:7], v[14:15]
	v_add_f64_e32 v[8:9], v[8:9], v[16:17]
.LBB90_6:
	s_or_b32 exec_lo, exec_lo, s3
.LBB90_7:
	s_delay_alu instid0(SALU_CYCLE_1) | instskip(NEXT) | instid1(SALU_CYCLE_1)
	s_or_b32 exec_lo, exec_lo, s2
	s_mov_b32 s2, exec_lo
	s_barrier_signal -1
	s_barrier_wait -1
	ds_store_b128 v12, v[6:9]
	s_wait_dscnt 0x0
	s_barrier_signal -1
	s_barrier_wait -1
	v_cmpx_lt_u32_e32 1, v0
	s_cbranch_execz .LBB90_11
; %bb.8:
	v_add_nc_u32_e32 v13, -16, v1
	s_mov_b32 s3, exec_lo
	ds_load_b64 v[14:15], v13
	s_wait_dscnt 0x0
	v_cmpx_eq_u64_e64 v[10:11], v[14:15]
	s_cbranch_execz .LBB90_10
; %bb.9:
	v_subrev_nc_u32_e32 v13, 32, v12
	ds_load_b128 v[14:17], v13
	s_wait_dscnt 0x0
	v_add_f64_e32 v[6:7], v[6:7], v[14:15]
	v_add_f64_e32 v[8:9], v[8:9], v[16:17]
.LBB90_10:
	s_or_b32 exec_lo, exec_lo, s3
.LBB90_11:
	s_delay_alu instid0(SALU_CYCLE_1) | instskip(NEXT) | instid1(SALU_CYCLE_1)
	s_or_b32 exec_lo, exec_lo, s2
	s_mov_b32 s2, exec_lo
	s_barrier_signal -1
	s_barrier_wait -1
	ds_store_b128 v12, v[6:9]
	s_wait_dscnt 0x0
	s_barrier_signal -1
	s_barrier_wait -1
	v_cmpx_lt_u32_e32 3, v0
	s_cbranch_execz .LBB90_15
; %bb.12:
	v_subrev_nc_u32_e32 v13, 32, v1
	s_mov_b32 s3, exec_lo
	ds_load_b64 v[14:15], v13
	s_wait_dscnt 0x0
	v_cmpx_eq_u64_e64 v[10:11], v[14:15]
	s_cbranch_execz .LBB90_14
; %bb.13:
	v_subrev_nc_u32_e32 v13, 64, v12
	ds_load_b128 v[14:17], v13
	s_wait_dscnt 0x0
	v_add_f64_e32 v[6:7], v[6:7], v[14:15]
	v_add_f64_e32 v[8:9], v[8:9], v[16:17]
.LBB90_14:
	s_or_b32 exec_lo, exec_lo, s3
.LBB90_15:
	s_delay_alu instid0(SALU_CYCLE_1) | instskip(NEXT) | instid1(SALU_CYCLE_1)
	s_or_b32 exec_lo, exec_lo, s2
	s_mov_b32 s2, exec_lo
	s_barrier_signal -1
	s_barrier_wait -1
	ds_store_b128 v12, v[6:9]
	s_wait_dscnt 0x0
	s_barrier_signal -1
	s_barrier_wait -1
	v_cmpx_lt_u32_e32 7, v0
	s_cbranch_execz .LBB90_19
; %bb.16:
	v_subrev_nc_u32_e32 v13, 64, v1
	s_mov_b32 s3, exec_lo
	ds_load_b64 v[14:15], v13
	s_wait_dscnt 0x0
	v_cmpx_eq_u64_e64 v[10:11], v[14:15]
	s_cbranch_execz .LBB90_18
; %bb.17:
	v_add_nc_u32_e32 v13, 0xffffff80, v12
	ds_load_b128 v[14:17], v13
	s_wait_dscnt 0x0
	v_add_f64_e32 v[6:7], v[6:7], v[14:15]
	v_add_f64_e32 v[8:9], v[8:9], v[16:17]
.LBB90_18:
	s_or_b32 exec_lo, exec_lo, s3
.LBB90_19:
	s_delay_alu instid0(SALU_CYCLE_1) | instskip(NEXT) | instid1(SALU_CYCLE_1)
	s_or_b32 exec_lo, exec_lo, s2
	s_mov_b32 s2, exec_lo
	s_barrier_signal -1
	s_barrier_wait -1
	ds_store_b128 v12, v[6:9]
	s_wait_dscnt 0x0
	s_barrier_signal -1
	s_barrier_wait -1
	v_cmpx_lt_u32_e32 15, v0
	s_cbranch_execz .LBB90_23
; %bb.20:
	v_add_nc_u32_e32 v13, 0xffffff80, v1
	s_mov_b32 s3, exec_lo
	ds_load_b64 v[14:15], v13
	s_wait_dscnt 0x0
	v_cmpx_eq_u64_e64 v[10:11], v[14:15]
	s_cbranch_execz .LBB90_22
; %bb.21:
	v_add_nc_u32_e32 v13, 0xffffff00, v12
	ds_load_b128 v[14:17], v13
	s_wait_dscnt 0x0
	v_add_f64_e32 v[6:7], v[6:7], v[14:15]
	v_add_f64_e32 v[8:9], v[8:9], v[16:17]
.LBB90_22:
	s_or_b32 exec_lo, exec_lo, s3
.LBB90_23:
	s_delay_alu instid0(SALU_CYCLE_1) | instskip(NEXT) | instid1(SALU_CYCLE_1)
	s_or_b32 exec_lo, exec_lo, s2
	s_mov_b32 s2, exec_lo
	s_barrier_signal -1
	s_barrier_wait -1
	ds_store_b128 v12, v[6:9]
	s_wait_dscnt 0x0
	s_barrier_signal -1
	s_barrier_wait -1
	v_cmpx_lt_u32_e32 31, v0
	s_cbranch_execz .LBB90_27
; %bb.24:
	v_add_nc_u32_e32 v13, 0xffffff00, v1
	s_mov_b32 s3, exec_lo
	ds_load_b64 v[14:15], v13
	s_wait_dscnt 0x0
	v_cmpx_eq_u64_e64 v[10:11], v[14:15]
	s_cbranch_execz .LBB90_26
; %bb.25:
	v_add_nc_u32_e32 v13, 0xfffffe00, v12
	ds_load_b128 v[14:17], v13
	s_wait_dscnt 0x0
	v_add_f64_e32 v[6:7], v[6:7], v[14:15]
	v_add_f64_e32 v[8:9], v[8:9], v[16:17]
.LBB90_26:
	s_or_b32 exec_lo, exec_lo, s3
.LBB90_27:
	;; [unrolled: 27-line block ×4, first 2 shown]
	s_delay_alu instid0(SALU_CYCLE_1)
	s_or_b32 exec_lo, exec_lo, s2
	s_load_b64 s[2:3], s[0:1], 0x38
	s_wait_xcnt 0x0
	s_mov_b32 s1, exec_lo
	s_barrier_signal -1
	s_barrier_wait -1
	ds_store_b128 v12, v[6:9]
	s_wait_dscnt 0x0
	s_barrier_signal -1
	s_barrier_wait -1
	v_cmpx_gt_u32_e32 0xff, v0
	s_cbranch_execz .LBB90_38
; %bb.36:
	ds_load_b64 v[12:13], v1 offset:8
	v_cmp_lt_i64_e64 s0, -1, v[10:11]
	s_wait_dscnt 0x0
	v_cmp_ne_u64_e32 vcc_lo, v[10:11], v[12:13]
	s_and_b32 s0, s0, vcc_lo
	s_delay_alu instid0(SALU_CYCLE_1)
	s_and_b32 exec_lo, exec_lo, s0
	s_cbranch_execz .LBB90_38
; %bb.37:
	v_mul_f64_e64 v[12:13], v[8:9], -v[4:5]
	v_mul_f64_e32 v[14:15], v[2:3], v[8:9]
	s_wait_kmcnt 0x0
	v_lshl_add_u64 v[16:17], v[10:11], 4, s[2:3]
	s_delay_alu instid0(VALU_DEP_3) | instskip(NEXT) | instid1(VALU_DEP_3)
	v_fmac_f64_e32 v[12:13], v[2:3], v[6:7]
	v_fmac_f64_e32 v[14:15], v[4:5], v[6:7]
	global_atomic_add_f64 v[16:17], v[12:13], off scope:SCOPE_DEV
	s_wait_xcnt 0x0
	global_atomic_add_f64 v[16:17], v[14:15], off offset:8 scope:SCOPE_DEV
.LBB90_38:
	s_wait_xcnt 0x0
	s_or_b32 exec_lo, exec_lo, s1
	v_cmp_lt_i64_e32 vcc_lo, -1, v[10:11]
	v_cmp_eq_u32_e64 s0, 0xff, v0
	s_and_b32 s0, s0, vcc_lo
	s_delay_alu instid0(SALU_CYCLE_1)
	s_and_b32 exec_lo, exec_lo, s0
	s_cbranch_execz .LBB90_40
; %bb.39:
	v_mul_f64_e64 v[0:1], v[8:9], -v[4:5]
	v_mul_f64_e32 v[8:9], v[2:3], v[8:9]
	s_delay_alu instid0(VALU_DEP_2) | instskip(NEXT) | instid1(VALU_DEP_2)
	v_fmac_f64_e32 v[0:1], v[2:3], v[6:7]
	v_fmac_f64_e32 v[8:9], v[4:5], v[6:7]
	s_wait_kmcnt 0x0
	v_lshl_add_u64 v[2:3], v[10:11], 4, s[2:3]
	global_atomic_add_f64 v[2:3], v[0:1], off scope:SCOPE_DEV
	s_wait_xcnt 0x0
	global_atomic_add_f64 v[2:3], v[8:9], off offset:8 scope:SCOPE_DEV
.LBB90_40:
	s_endpgm
	.section	.rodata,"a",@progbits
	.p2align	6, 0x0
	.amdhsa_kernel _ZN9rocsparseL19coomvn_atomic_loopsILj256ELj1Eld21rocsparse_complex_numIdES2_S2_EEvlNS_24const_host_device_scalarIT5_EEPKT1_S8_PKT2_PKT3_PT4_21rocsparse_index_base_b
		.amdhsa_group_segment_fixed_size 6144
		.amdhsa_private_segment_fixed_size 0
		.amdhsa_kernarg_size 72
		.amdhsa_user_sgpr_count 2
		.amdhsa_user_sgpr_dispatch_ptr 0
		.amdhsa_user_sgpr_queue_ptr 0
		.amdhsa_user_sgpr_kernarg_segment_ptr 1
		.amdhsa_user_sgpr_dispatch_id 0
		.amdhsa_user_sgpr_kernarg_preload_length 0
		.amdhsa_user_sgpr_kernarg_preload_offset 0
		.amdhsa_user_sgpr_private_segment_size 0
		.amdhsa_wavefront_size32 1
		.amdhsa_uses_dynamic_stack 0
		.amdhsa_enable_private_segment 0
		.amdhsa_system_sgpr_workgroup_id_x 1
		.amdhsa_system_sgpr_workgroup_id_y 0
		.amdhsa_system_sgpr_workgroup_id_z 0
		.amdhsa_system_sgpr_workgroup_info 0
		.amdhsa_system_vgpr_workitem_id 0
		.amdhsa_next_free_vgpr 18
		.amdhsa_next_free_sgpr 20
		.amdhsa_named_barrier_count 0
		.amdhsa_reserve_vcc 1
		.amdhsa_float_round_mode_32 0
		.amdhsa_float_round_mode_16_64 0
		.amdhsa_float_denorm_mode_32 3
		.amdhsa_float_denorm_mode_16_64 3
		.amdhsa_fp16_overflow 0
		.amdhsa_memory_ordered 1
		.amdhsa_forward_progress 1
		.amdhsa_inst_pref_size 12
		.amdhsa_round_robin_scheduling 0
		.amdhsa_exception_fp_ieee_invalid_op 0
		.amdhsa_exception_fp_denorm_src 0
		.amdhsa_exception_fp_ieee_div_zero 0
		.amdhsa_exception_fp_ieee_overflow 0
		.amdhsa_exception_fp_ieee_underflow 0
		.amdhsa_exception_fp_ieee_inexact 0
		.amdhsa_exception_int_div_zero 0
	.end_amdhsa_kernel
	.section	.text._ZN9rocsparseL19coomvn_atomic_loopsILj256ELj1Eld21rocsparse_complex_numIdES2_S2_EEvlNS_24const_host_device_scalarIT5_EEPKT1_S8_PKT2_PKT3_PT4_21rocsparse_index_base_b,"axG",@progbits,_ZN9rocsparseL19coomvn_atomic_loopsILj256ELj1Eld21rocsparse_complex_numIdES2_S2_EEvlNS_24const_host_device_scalarIT5_EEPKT1_S8_PKT2_PKT3_PT4_21rocsparse_index_base_b,comdat
.Lfunc_end90:
	.size	_ZN9rocsparseL19coomvn_atomic_loopsILj256ELj1Eld21rocsparse_complex_numIdES2_S2_EEvlNS_24const_host_device_scalarIT5_EEPKT1_S8_PKT2_PKT3_PT4_21rocsparse_index_base_b, .Lfunc_end90-_ZN9rocsparseL19coomvn_atomic_loopsILj256ELj1Eld21rocsparse_complex_numIdES2_S2_EEvlNS_24const_host_device_scalarIT5_EEPKT1_S8_PKT2_PKT3_PT4_21rocsparse_index_base_b
                                        ; -- End function
	.set _ZN9rocsparseL19coomvn_atomic_loopsILj256ELj1Eld21rocsparse_complex_numIdES2_S2_EEvlNS_24const_host_device_scalarIT5_EEPKT1_S8_PKT2_PKT3_PT4_21rocsparse_index_base_b.num_vgpr, 18
	.set _ZN9rocsparseL19coomvn_atomic_loopsILj256ELj1Eld21rocsparse_complex_numIdES2_S2_EEvlNS_24const_host_device_scalarIT5_EEPKT1_S8_PKT2_PKT3_PT4_21rocsparse_index_base_b.num_agpr, 0
	.set _ZN9rocsparseL19coomvn_atomic_loopsILj256ELj1Eld21rocsparse_complex_numIdES2_S2_EEvlNS_24const_host_device_scalarIT5_EEPKT1_S8_PKT2_PKT3_PT4_21rocsparse_index_base_b.numbered_sgpr, 20
	.set _ZN9rocsparseL19coomvn_atomic_loopsILj256ELj1Eld21rocsparse_complex_numIdES2_S2_EEvlNS_24const_host_device_scalarIT5_EEPKT1_S8_PKT2_PKT3_PT4_21rocsparse_index_base_b.num_named_barrier, 0
	.set _ZN9rocsparseL19coomvn_atomic_loopsILj256ELj1Eld21rocsparse_complex_numIdES2_S2_EEvlNS_24const_host_device_scalarIT5_EEPKT1_S8_PKT2_PKT3_PT4_21rocsparse_index_base_b.private_seg_size, 0
	.set _ZN9rocsparseL19coomvn_atomic_loopsILj256ELj1Eld21rocsparse_complex_numIdES2_S2_EEvlNS_24const_host_device_scalarIT5_EEPKT1_S8_PKT2_PKT3_PT4_21rocsparse_index_base_b.uses_vcc, 1
	.set _ZN9rocsparseL19coomvn_atomic_loopsILj256ELj1Eld21rocsparse_complex_numIdES2_S2_EEvlNS_24const_host_device_scalarIT5_EEPKT1_S8_PKT2_PKT3_PT4_21rocsparse_index_base_b.uses_flat_scratch, 0
	.set _ZN9rocsparseL19coomvn_atomic_loopsILj256ELj1Eld21rocsparse_complex_numIdES2_S2_EEvlNS_24const_host_device_scalarIT5_EEPKT1_S8_PKT2_PKT3_PT4_21rocsparse_index_base_b.has_dyn_sized_stack, 0
	.set _ZN9rocsparseL19coomvn_atomic_loopsILj256ELj1Eld21rocsparse_complex_numIdES2_S2_EEvlNS_24const_host_device_scalarIT5_EEPKT1_S8_PKT2_PKT3_PT4_21rocsparse_index_base_b.has_recursion, 0
	.set _ZN9rocsparseL19coomvn_atomic_loopsILj256ELj1Eld21rocsparse_complex_numIdES2_S2_EEvlNS_24const_host_device_scalarIT5_EEPKT1_S8_PKT2_PKT3_PT4_21rocsparse_index_base_b.has_indirect_call, 0
	.section	.AMDGPU.csdata,"",@progbits
; Kernel info:
; codeLenInByte = 1516
; TotalNumSgprs: 22
; NumVgprs: 18
; ScratchSize: 0
; MemoryBound: 1
; FloatMode: 240
; IeeeMode: 1
; LDSByteSize: 6144 bytes/workgroup (compile time only)
; SGPRBlocks: 0
; VGPRBlocks: 1
; NumSGPRsForWavesPerEU: 22
; NumVGPRsForWavesPerEU: 18
; NamedBarCnt: 0
; Occupancy: 16
; WaveLimiterHint : 1
; COMPUTE_PGM_RSRC2:SCRATCH_EN: 0
; COMPUTE_PGM_RSRC2:USER_SGPR: 2
; COMPUTE_PGM_RSRC2:TRAP_HANDLER: 0
; COMPUTE_PGM_RSRC2:TGID_X_EN: 1
; COMPUTE_PGM_RSRC2:TGID_Y_EN: 0
; COMPUTE_PGM_RSRC2:TGID_Z_EN: 0
; COMPUTE_PGM_RSRC2:TIDIG_COMP_CNT: 0
	.section	.text._ZN9rocsparseL19coomvn_atomic_loopsILj256ELj2Eld21rocsparse_complex_numIdES2_S2_EEvlNS_24const_host_device_scalarIT5_EEPKT1_S8_PKT2_PKT3_PT4_21rocsparse_index_base_b,"axG",@progbits,_ZN9rocsparseL19coomvn_atomic_loopsILj256ELj2Eld21rocsparse_complex_numIdES2_S2_EEvlNS_24const_host_device_scalarIT5_EEPKT1_S8_PKT2_PKT3_PT4_21rocsparse_index_base_b,comdat
	.globl	_ZN9rocsparseL19coomvn_atomic_loopsILj256ELj2Eld21rocsparse_complex_numIdES2_S2_EEvlNS_24const_host_device_scalarIT5_EEPKT1_S8_PKT2_PKT3_PT4_21rocsparse_index_base_b ; -- Begin function _ZN9rocsparseL19coomvn_atomic_loopsILj256ELj2Eld21rocsparse_complex_numIdES2_S2_EEvlNS_24const_host_device_scalarIT5_EEPKT1_S8_PKT2_PKT3_PT4_21rocsparse_index_base_b
	.p2align	8
	.type	_ZN9rocsparseL19coomvn_atomic_loopsILj256ELj2Eld21rocsparse_complex_numIdES2_S2_EEvlNS_24const_host_device_scalarIT5_EEPKT1_S8_PKT2_PKT3_PT4_21rocsparse_index_base_b,@function
_ZN9rocsparseL19coomvn_atomic_loopsILj256ELj2Eld21rocsparse_complex_numIdES2_S2_EEvlNS_24const_host_device_scalarIT5_EEPKT1_S8_PKT2_PKT3_PT4_21rocsparse_index_base_b: ; @_ZN9rocsparseL19coomvn_atomic_loopsILj256ELj2Eld21rocsparse_complex_numIdES2_S2_EEvlNS_24const_host_device_scalarIT5_EEPKT1_S8_PKT2_PKT3_PT4_21rocsparse_index_base_b
; %bb.0:
	s_clause 0x1
	s_load_b64 s[24:25], s[0:1], 0x40
	s_load_b128 s[20:23], s[0:1], 0x0
	v_mov_b32_e32 v11, 0
	s_or_b64 s[2:3], s[0:1], 8
	s_wait_kmcnt 0x0
	s_bitcmp1_b32 s25, 0
	s_cselect_b32 s3, s3, s23
	s_cselect_b32 s2, s2, s22
	flat_load_b128 v[2:5], v11, s[2:3]
	s_wait_loadcnt_dscnt 0x0
	v_cmp_neq_f64_e32 vcc_lo, 0, v[2:3]
	v_cmp_neq_f64_e64 s2, 0, v[4:5]
	s_or_b32 s2, vcc_lo, s2
	s_delay_alu instid0(SALU_CYCLE_1)
	s_and_saveexec_b32 s3, s2
	s_cbranch_execz .LBB91_92
; %bb.1:
	s_bfe_u32 s2, ttmp6, 0x4000c
	s_load_b256 s[12:19], s[0:1], 0x18
	s_add_co_i32 s2, s2, 1
	s_and_b32 s3, ttmp6, 15
	s_mul_i32 s2, ttmp9, s2
	s_getreg_b32 s4, hwreg(HW_REG_IB_STS2, 6, 4)
	s_add_co_i32 s3, s3, s2
	s_cmp_eq_u32 s4, 0
	v_mov_b64_e32 v[6:7], 0
	s_cselect_b32 s2, ttmp9, s3
	v_mov_b64_e32 v[14:15], -1
	v_lshl_or_b32 v10, s2, 9, v0
	s_mov_b32 s25, 0
	s_mov_b32 s2, exec_lo
	s_delay_alu instid0(VALU_DEP_3) | instskip(NEXT) | instid1(VALU_DEP_2)
	v_mov_b64_e32 v[8:9], v[6:7]
	v_lshlrev_b64_e32 v[12:13], 3, v[10:11]
	v_cmpx_gt_i64_e64 s[20:21], v[10:11]
	s_cbranch_execz .LBB91_3
; %bb.2:
	s_wait_kmcnt 0x0
	s_delay_alu instid0(VALU_DEP_2) | instskip(SKIP_4) | instid1(VALU_DEP_1)
	v_add_nc_u64_e32 v[6:7], s[14:15], v[12:13]
	v_add_nc_u64_e32 v[8:9], s[16:17], v[12:13]
	global_load_b64 v[6:7], v[6:7], off th:TH_LOAD_NT
	s_wait_loadcnt 0x0
	v_sub_nc_u64_e64 v[6:7], v[6:7], s[24:25]
	v_lshl_add_u64 v[6:7], v[6:7], 4, s[18:19]
	global_load_b128 v[14:17], v[6:7], off
	global_load_b64 v[18:19], v[8:9], off th:TH_LOAD_NT
	s_wait_xcnt 0x1
	v_add_nc_u64_e32 v[6:7], s[12:13], v[12:13]
	global_load_b64 v[20:21], v[6:7], off th:TH_LOAD_NT
	s_wait_loadcnt 0x2
	s_wait_xcnt 0x0
	v_mul_f64_e32 v[6:7], 0x80000000, v[16:17]
	s_wait_loadcnt 0x1
	v_mul_f64_e32 v[8:9], v[18:19], v[16:17]
	s_delay_alu instid0(VALU_DEP_2) | instskip(NEXT) | instid1(VALU_DEP_2)
	v_fmac_f64_e32 v[6:7], v[18:19], v[14:15]
	v_fmac_f64_e32 v[8:9], 0, v[14:15]
	s_wait_loadcnt 0x0
	v_sub_nc_u64_e64 v[14:15], v[20:21], s[24:25]
.LBB91_3:
	s_or_b32 exec_lo, exec_lo, s2
	v_dual_lshlrev_b32 v16, 3, v0 :: v_dual_lshlrev_b32 v22, 4, v0
	v_cmp_ne_u32_e64 s2, 0, v0
	v_cmp_eq_u32_e32 vcc_lo, 0, v0
	ds_store_b64 v16, v[14:15] offset:4096
	ds_store_b128 v22, v[6:9]
	v_or_b32_e32 v1, 0x1000, v16
	s_wait_dscnt 0x0
	s_barrier_signal -1
	s_barrier_wait -1
	s_delay_alu instid0(VALU_DEP_1)
	v_add_nc_u32_e32 v23, -8, v1
	s_and_saveexec_b32 s4, s2
	s_cbranch_execz .LBB91_7
; %bb.4:
	ds_load_b64 v[16:17], v23
	s_mov_b32 s5, exec_lo
	s_wait_dscnt 0x0
	v_cmpx_eq_u64_e64 v[14:15], v[16:17]
	s_cbranch_execz .LBB91_6
; %bb.5:
	v_add_nc_u32_e32 v16, -16, v22
	ds_load_b128 v[16:19], v16
	s_wait_dscnt 0x0
	v_add_f64_e32 v[6:7], v[6:7], v[16:17]
	v_add_f64_e32 v[8:9], v[8:9], v[18:19]
.LBB91_6:
	s_or_b32 exec_lo, exec_lo, s5
.LBB91_7:
	s_delay_alu instid0(SALU_CYCLE_1)
	s_or_b32 exec_lo, exec_lo, s4
	v_cmp_lt_u32_e64 s3, 1, v0
	v_add_nc_u32_e32 v24, -16, v1
	s_barrier_signal -1
	s_barrier_wait -1
	ds_store_b128 v22, v[6:9]
	s_wait_dscnt 0x0
	s_barrier_signal -1
	s_barrier_wait -1
	s_and_saveexec_b32 s5, s3
	s_cbranch_execz .LBB91_11
; %bb.8:
	ds_load_b64 v[16:17], v24
	s_mov_b32 s6, exec_lo
	s_wait_dscnt 0x0
	v_cmpx_eq_u64_e64 v[14:15], v[16:17]
	s_cbranch_execz .LBB91_10
; %bb.9:
	v_subrev_nc_u32_e32 v16, 32, v22
	ds_load_b128 v[16:19], v16
	s_wait_dscnt 0x0
	v_add_f64_e32 v[6:7], v[6:7], v[16:17]
	v_add_f64_e32 v[8:9], v[8:9], v[18:19]
.LBB91_10:
	s_or_b32 exec_lo, exec_lo, s6
.LBB91_11:
	s_delay_alu instid0(SALU_CYCLE_1)
	s_or_b32 exec_lo, exec_lo, s5
	v_cmp_lt_u32_e64 s4, 3, v0
	v_subrev_nc_u32_e32 v25, 32, v1
	s_barrier_signal -1
	s_barrier_wait -1
	ds_store_b128 v22, v[6:9]
	s_wait_dscnt 0x0
	s_barrier_signal -1
	s_barrier_wait -1
	s_and_saveexec_b32 s6, s4
	s_cbranch_execz .LBB91_15
; %bb.12:
	ds_load_b64 v[16:17], v25
	s_mov_b32 s7, exec_lo
	s_wait_dscnt 0x0
	v_cmpx_eq_u64_e64 v[14:15], v[16:17]
	s_cbranch_execz .LBB91_14
; %bb.13:
	v_subrev_nc_u32_e32 v16, 64, v22
	ds_load_b128 v[16:19], v16
	s_wait_dscnt 0x0
	v_add_f64_e32 v[6:7], v[6:7], v[16:17]
	v_add_f64_e32 v[8:9], v[8:9], v[18:19]
.LBB91_14:
	s_or_b32 exec_lo, exec_lo, s7
.LBB91_15:
	s_delay_alu instid0(SALU_CYCLE_1)
	s_or_b32 exec_lo, exec_lo, s6
	v_cmp_lt_u32_e64 s5, 7, v0
	v_subrev_nc_u32_e32 v26, 64, v1
	s_barrier_signal -1
	s_barrier_wait -1
	ds_store_b128 v22, v[6:9]
	s_wait_dscnt 0x0
	s_barrier_signal -1
	s_barrier_wait -1
	s_and_saveexec_b32 s7, s5
	s_cbranch_execz .LBB91_19
; %bb.16:
	ds_load_b64 v[16:17], v26
	s_mov_b32 s8, exec_lo
	s_wait_dscnt 0x0
	v_cmpx_eq_u64_e64 v[14:15], v[16:17]
	s_cbranch_execz .LBB91_18
; %bb.17:
	v_add_nc_u32_e32 v16, 0xffffff80, v22
	ds_load_b128 v[16:19], v16
	s_wait_dscnt 0x0
	v_add_f64_e32 v[6:7], v[6:7], v[16:17]
	v_add_f64_e32 v[8:9], v[8:9], v[18:19]
.LBB91_18:
	s_or_b32 exec_lo, exec_lo, s8
.LBB91_19:
	s_delay_alu instid0(SALU_CYCLE_1)
	s_or_b32 exec_lo, exec_lo, s7
	v_cmp_lt_u32_e64 s6, 15, v0
	v_add_nc_u32_e32 v27, 0xffffff80, v1
	s_barrier_signal -1
	s_barrier_wait -1
	ds_store_b128 v22, v[6:9]
	s_wait_dscnt 0x0
	s_barrier_signal -1
	s_barrier_wait -1
	s_and_saveexec_b32 s8, s6
	s_cbranch_execz .LBB91_23
; %bb.20:
	ds_load_b64 v[16:17], v27
	s_mov_b32 s9, exec_lo
	s_wait_dscnt 0x0
	v_cmpx_eq_u64_e64 v[14:15], v[16:17]
	s_cbranch_execz .LBB91_22
; %bb.21:
	v_add_nc_u32_e32 v16, 0xffffff00, v22
	ds_load_b128 v[16:19], v16
	s_wait_dscnt 0x0
	v_add_f64_e32 v[6:7], v[6:7], v[16:17]
	v_add_f64_e32 v[8:9], v[8:9], v[18:19]
.LBB91_22:
	s_or_b32 exec_lo, exec_lo, s9
.LBB91_23:
	s_delay_alu instid0(SALU_CYCLE_1)
	s_or_b32 exec_lo, exec_lo, s8
	v_cmp_lt_u32_e64 s7, 31, v0
	v_add_nc_u32_e32 v28, 0xffffff00, v1
	;; [unrolled: 27-line block ×4, first 2 shown]
	s_barrier_signal -1
	s_barrier_wait -1
	ds_store_b128 v22, v[6:9]
	s_wait_dscnt 0x0
	s_barrier_signal -1
	s_barrier_wait -1
	s_and_saveexec_b32 s11, s9
	s_cbranch_execz .LBB91_35
; %bb.32:
	ds_load_b64 v[16:17], v30
	s_mov_b32 s22, exec_lo
	s_wait_dscnt 0x0
	v_cmpx_eq_u64_e64 v[14:15], v[16:17]
	s_cbranch_execz .LBB91_34
; %bb.33:
	v_add_nc_u32_e32 v16, 0xfffff800, v22
	ds_load_b128 v[16:19], v16
	s_wait_dscnt 0x0
	v_add_f64_e32 v[6:7], v[6:7], v[16:17]
	v_add_f64_e32 v[8:9], v[8:9], v[18:19]
.LBB91_34:
	s_or_b32 exec_lo, exec_lo, s22
.LBB91_35:
	s_delay_alu instid0(SALU_CYCLE_1)
	s_or_b32 exec_lo, exec_lo, s11
	s_load_b64 s[22:23], s[0:1], 0x38
	s_wait_xcnt 0x0
	v_cmp_gt_u32_e64 s0, 0xff, v0
	s_barrier_signal -1
	s_barrier_wait -1
	ds_store_b128 v22, v[6:9]
	s_wait_dscnt 0x0
	s_barrier_signal -1
	s_barrier_wait -1
	s_and_saveexec_b32 s11, s0
	s_cbranch_execz .LBB91_38
; %bb.36:
	ds_load_b64 v[16:17], v1 offset:8
	v_cmp_lt_i64_e64 s10, -1, v[14:15]
	s_wait_dscnt 0x0
	v_cmp_ne_u64_e64 s1, v[14:15], v[16:17]
	s_and_b32 s1, s10, s1
	s_delay_alu instid0(SALU_CYCLE_1)
	s_and_b32 exec_lo, exec_lo, s1
	s_cbranch_execz .LBB91_38
; %bb.37:
	v_mul_f64_e64 v[16:17], v[8:9], -v[4:5]
	v_mul_f64_e32 v[8:9], v[2:3], v[8:9]
	s_delay_alu instid0(VALU_DEP_2) | instskip(NEXT) | instid1(VALU_DEP_2)
	v_fmac_f64_e32 v[16:17], v[2:3], v[6:7]
	v_fmac_f64_e32 v[8:9], v[4:5], v[6:7]
	s_wait_kmcnt 0x0
	v_lshl_add_u64 v[6:7], v[14:15], 4, s[22:23]
	global_atomic_add_f64 v[6:7], v[16:17], off scope:SCOPE_DEV
	s_wait_xcnt 0x0
	global_atomic_add_f64 v[6:7], v[8:9], off offset:8 scope:SCOPE_DEV
.LBB91_38:
	s_wait_xcnt 0x0
	s_or_b32 exec_lo, exec_lo, s11
	v_add_nc_u64_e32 v[8:9], 0x100, v[10:11]
	v_mov_b64_e32 v[14:15], -1
	v_mov_b64_e32 v[6:7], 0
	s_delay_alu instid0(VALU_DEP_3)
	v_cmp_gt_i64_e64 s1, s[20:21], v[8:9]
	v_mov_b64_e32 v[8:9], 0
	s_and_saveexec_b32 s10, s1
	s_cbranch_execz .LBB91_40
; %bb.39:
	s_wait_kmcnt 0x0
	v_add_nc_u64_e32 v[6:7], s[14:15], v[12:13]
	v_add_nc_u64_e32 v[8:9], s[16:17], v[12:13]
	global_load_b64 v[6:7], v[6:7], off offset:2048 th:TH_LOAD_NT
	s_wait_loadcnt 0x0
	v_sub_nc_u64_e64 v[6:7], v[6:7], s[24:25]
	s_delay_alu instid0(VALU_DEP_1)
	v_lshl_add_u64 v[6:7], v[6:7], 4, s[18:19]
	global_load_b128 v[14:17], v[6:7], off
	global_load_b64 v[10:11], v[8:9], off offset:2048 th:TH_LOAD_NT
	s_wait_xcnt 0x1
	v_add_nc_u64_e32 v[6:7], s[12:13], v[12:13]
	global_load_b64 v[12:13], v[6:7], off offset:2048 th:TH_LOAD_NT
	s_wait_loadcnt 0x2
	s_wait_xcnt 0x0
	v_mul_f64_e32 v[6:7], 0x80000000, v[16:17]
	s_wait_loadcnt 0x1
	v_mul_f64_e32 v[8:9], v[10:11], v[16:17]
	s_delay_alu instid0(VALU_DEP_2) | instskip(NEXT) | instid1(VALU_DEP_2)
	v_fmac_f64_e32 v[6:7], v[10:11], v[14:15]
	v_fmac_f64_e32 v[8:9], 0, v[14:15]
	s_wait_loadcnt 0x0
	v_sub_nc_u64_e64 v[14:15], v[12:13], s[24:25]
.LBB91_40:
	s_or_b32 exec_lo, exec_lo, s10
	s_and_saveexec_b32 s1, vcc_lo
	s_cbranch_execz .LBB91_55
; %bb.41:
	v_mov_b32_e32 v10, 0
	s_mov_b32 s10, exec_lo
	ds_load_b64 v[16:17], v10 offset:6136
	s_wait_dscnt 0x0
	v_cmpx_ne_u64_e64 v[14:15], v[16:17]
	s_xor_b32 s10, exec_lo, s10
	s_cbranch_execz .LBB91_52
; %bb.42:
	v_cmp_gt_i64_e32 vcc_lo, 0, v[16:17]
	s_cbranch_vccnz .LBB91_52
; %bb.43:
	v_mov_b32_e32 v10, 0
	v_mov_b64_e32 v[18:19], 0x8000000000000000
	s_mov_b32 s11, exec_lo
	ds_load_b128 v[10:13], v10 offset:4080
	s_wait_dscnt 0x0
	v_mul_f64_e64 v[20:21], v[12:13], -v[4:5]
	s_delay_alu instid0(VALU_DEP_1)
	v_fmac_f64_e32 v[20:21], v[2:3], v[10:11]
.LBB91_44:                              ; =>This Inner Loop Header: Depth=1
	s_wait_kmcnt 0x0
	s_ctz_i32_b32 s14, s11
	s_delay_alu instid0(VALU_DEP_1) | instid1(SALU_CYCLE_1)
	v_readlane_b32 s13, v21, s14
	s_delay_alu instid0(VALU_DEP_2) | instskip(NEXT) | instid1(VALU_DEP_1)
	v_readlane_b32 s12, v20, s14
	v_add_f64_e32 v[18:19], s[12:13], v[18:19]
	s_lshl_b32 s12, 1, s14
	s_delay_alu instid0(SALU_CYCLE_1) | instskip(NEXT) | instid1(SALU_CYCLE_1)
	s_and_not1_b32 s11, s11, s12
	s_cmp_lg_u32 s11, 0
	s_cbranch_scc1 .LBB91_44
; %bb.45:
	v_lshlrev_b64_e32 v[16:17], 4, v[16:17]
	v_mbcnt_lo_u32_b32 v20, exec_lo, 0
	s_mov_b32 s11, exec_lo
	s_delay_alu instid0(VALU_DEP_2) | instskip(NEXT) | instid1(VALU_DEP_2)
	v_add_nc_u64_e32 v[16:17], s[22:23], v[16:17]
	v_cmpx_eq_u32_e32 0, v20
	s_xor_b32 s11, exec_lo, s11
	s_cbranch_execz .LBB91_47
; %bb.46:
	global_atomic_add_f64 v[16:17], v[18:19], off scope:SCOPE_DEV
.LBB91_47:
	s_wait_xcnt 0x0
	s_or_b32 exec_lo, exec_lo, s11
	v_mul_f64_e32 v[12:13], v[2:3], v[12:13]
	s_mov_b32 s11, exec_lo
	s_delay_alu instid0(VALU_DEP_1)
	v_fmac_f64_e32 v[12:13], v[4:5], v[10:11]
	v_mov_b64_e32 v[10:11], 0x8000000000000000
.LBB91_48:                              ; =>This Inner Loop Header: Depth=1
	s_ctz_i32_b32 s14, s11
	s_delay_alu instid0(VALU_DEP_2) | instid1(SALU_CYCLE_1)
	v_readlane_b32 s13, v13, s14
	s_delay_alu instid0(VALU_DEP_3) | instskip(NEXT) | instid1(VALU_DEP_1)
	v_readlane_b32 s12, v12, s14
	v_add_f64_e32 v[10:11], s[12:13], v[10:11]
	s_lshl_b32 s12, 1, s14
	s_delay_alu instid0(SALU_CYCLE_1) | instskip(NEXT) | instid1(SALU_CYCLE_1)
	s_and_not1_b32 s11, s11, s12
	s_cmp_lg_u32 s11, 0
	s_cbranch_scc1 .LBB91_48
; %bb.49:
	v_mbcnt_lo_u32_b32 v12, exec_lo, 0
	s_mov_b32 s11, exec_lo
	s_delay_alu instid0(VALU_DEP_1)
	v_cmpx_eq_u32_e32 0, v12
	s_xor_b32 s11, exec_lo, s11
	s_cbranch_execz .LBB91_51
; %bb.50:
	global_atomic_add_f64 v[16:17], v[10:11], off offset:8 scope:SCOPE_DEV
.LBB91_51:
	s_wait_xcnt 0x0
	s_or_b32 exec_lo, exec_lo, s11
.LBB91_52:
	s_and_not1_saveexec_b32 s10, s10
	s_cbranch_execz .LBB91_54
; %bb.53:
	v_mov_b32_e32 v10, 0
	ds_load_b128 v[10:13], v10 offset:4080
	s_wait_dscnt 0x0
	v_add_f64_e32 v[6:7], v[6:7], v[10:11]
	v_add_f64_e32 v[8:9], v[8:9], v[12:13]
.LBB91_54:
	s_or_b32 exec_lo, exec_lo, s10
.LBB91_55:
	s_delay_alu instid0(SALU_CYCLE_1)
	s_or_b32 exec_lo, exec_lo, s1
	s_wait_storecnt 0x0
	s_barrier_signal -1
	s_barrier_wait -1
	ds_store_b64 v1, v[14:15]
	ds_store_b128 v22, v[6:9]
	s_wait_dscnt 0x0
	s_barrier_signal -1
	s_barrier_wait -1
	s_and_saveexec_b32 s1, s2
	s_cbranch_execz .LBB91_59
; %bb.56:
	ds_load_b64 v[10:11], v23
	s_mov_b32 s2, exec_lo
	s_wait_dscnt 0x0
	v_cmpx_eq_u64_e64 v[14:15], v[10:11]
	s_cbranch_execz .LBB91_58
; %bb.57:
	v_add_nc_u32_e32 v10, -16, v22
	ds_load_b128 v[10:13], v10
	s_wait_dscnt 0x0
	v_add_f64_e32 v[6:7], v[6:7], v[10:11]
	v_add_f64_e32 v[8:9], v[8:9], v[12:13]
.LBB91_58:
	s_or_b32 exec_lo, exec_lo, s2
.LBB91_59:
	s_delay_alu instid0(SALU_CYCLE_1)
	s_or_b32 exec_lo, exec_lo, s1
	s_barrier_signal -1
	s_barrier_wait -1
	ds_store_b128 v22, v[6:9]
	s_wait_dscnt 0x0
	s_barrier_signal -1
	s_barrier_wait -1
	s_and_saveexec_b32 s1, s3
	s_cbranch_execz .LBB91_63
; %bb.60:
	ds_load_b64 v[10:11], v24
	s_mov_b32 s2, exec_lo
	s_wait_dscnt 0x0
	v_cmpx_eq_u64_e64 v[14:15], v[10:11]
	s_cbranch_execz .LBB91_62
; %bb.61:
	v_subrev_nc_u32_e32 v10, 32, v22
	ds_load_b128 v[10:13], v10
	s_wait_dscnt 0x0
	v_add_f64_e32 v[6:7], v[6:7], v[10:11]
	v_add_f64_e32 v[8:9], v[8:9], v[12:13]
.LBB91_62:
	s_or_b32 exec_lo, exec_lo, s2
.LBB91_63:
	s_delay_alu instid0(SALU_CYCLE_1)
	s_or_b32 exec_lo, exec_lo, s1
	s_barrier_signal -1
	s_barrier_wait -1
	ds_store_b128 v22, v[6:9]
	s_wait_dscnt 0x0
	s_barrier_signal -1
	s_barrier_wait -1
	s_and_saveexec_b32 s1, s4
	s_cbranch_execz .LBB91_67
; %bb.64:
	ds_load_b64 v[10:11], v25
	s_mov_b32 s2, exec_lo
	s_wait_dscnt 0x0
	v_cmpx_eq_u64_e64 v[14:15], v[10:11]
	s_cbranch_execz .LBB91_66
; %bb.65:
	v_subrev_nc_u32_e32 v10, 64, v22
	ds_load_b128 v[10:13], v10
	s_wait_dscnt 0x0
	v_add_f64_e32 v[6:7], v[6:7], v[10:11]
	v_add_f64_e32 v[8:9], v[8:9], v[12:13]
.LBB91_66:
	s_or_b32 exec_lo, exec_lo, s2
.LBB91_67:
	s_delay_alu instid0(SALU_CYCLE_1)
	s_or_b32 exec_lo, exec_lo, s1
	s_barrier_signal -1
	s_barrier_wait -1
	ds_store_b128 v22, v[6:9]
	s_wait_dscnt 0x0
	s_barrier_signal -1
	s_barrier_wait -1
	s_and_saveexec_b32 s1, s5
	s_cbranch_execz .LBB91_71
; %bb.68:
	ds_load_b64 v[10:11], v26
	s_mov_b32 s2, exec_lo
	s_wait_dscnt 0x0
	v_cmpx_eq_u64_e64 v[14:15], v[10:11]
	s_cbranch_execz .LBB91_70
; %bb.69:
	v_add_nc_u32_e32 v10, 0xffffff80, v22
	ds_load_b128 v[10:13], v10
	s_wait_dscnt 0x0
	v_add_f64_e32 v[6:7], v[6:7], v[10:11]
	v_add_f64_e32 v[8:9], v[8:9], v[12:13]
.LBB91_70:
	s_or_b32 exec_lo, exec_lo, s2
.LBB91_71:
	s_delay_alu instid0(SALU_CYCLE_1)
	s_or_b32 exec_lo, exec_lo, s1
	s_barrier_signal -1
	s_barrier_wait -1
	ds_store_b128 v22, v[6:9]
	s_wait_dscnt 0x0
	s_barrier_signal -1
	s_barrier_wait -1
	s_and_saveexec_b32 s1, s6
	s_cbranch_execz .LBB91_75
; %bb.72:
	ds_load_b64 v[10:11], v27
	s_mov_b32 s2, exec_lo
	s_wait_dscnt 0x0
	v_cmpx_eq_u64_e64 v[14:15], v[10:11]
	s_cbranch_execz .LBB91_74
; %bb.73:
	v_add_nc_u32_e32 v10, 0xffffff00, v22
	ds_load_b128 v[10:13], v10
	s_wait_dscnt 0x0
	v_add_f64_e32 v[6:7], v[6:7], v[10:11]
	v_add_f64_e32 v[8:9], v[8:9], v[12:13]
.LBB91_74:
	s_or_b32 exec_lo, exec_lo, s2
.LBB91_75:
	;; [unrolled: 25-line block ×5, first 2 shown]
	s_delay_alu instid0(SALU_CYCLE_1)
	s_or_b32 exec_lo, exec_lo, s1
	s_barrier_signal -1
	s_barrier_wait -1
	ds_store_b128 v22, v[6:9]
	s_wait_dscnt 0x0
	s_barrier_signal -1
	s_barrier_wait -1
	s_and_saveexec_b32 s1, s0
	s_cbranch_execz .LBB91_90
; %bb.88:
	ds_load_b64 v[10:11], v1 offset:8
	v_cmp_lt_i64_e64 s0, -1, v[14:15]
	s_wait_dscnt 0x0
	v_cmp_ne_u64_e32 vcc_lo, v[14:15], v[10:11]
	s_and_b32 s0, s0, vcc_lo
	s_delay_alu instid0(SALU_CYCLE_1)
	s_and_b32 exec_lo, exec_lo, s0
	s_cbranch_execz .LBB91_90
; %bb.89:
	v_mul_f64_e64 v[10:11], v[8:9], -v[4:5]
	v_mul_f64_e32 v[12:13], v[2:3], v[8:9]
	s_wait_kmcnt 0x0
	v_lshl_add_u64 v[16:17], v[14:15], 4, s[22:23]
	s_delay_alu instid0(VALU_DEP_3) | instskip(NEXT) | instid1(VALU_DEP_3)
	v_fmac_f64_e32 v[10:11], v[2:3], v[6:7]
	v_fmac_f64_e32 v[12:13], v[4:5], v[6:7]
	global_atomic_add_f64 v[16:17], v[10:11], off scope:SCOPE_DEV
	s_wait_xcnt 0x0
	global_atomic_add_f64 v[16:17], v[12:13], off offset:8 scope:SCOPE_DEV
.LBB91_90:
	s_wait_xcnt 0x0
	s_or_b32 exec_lo, exec_lo, s1
	v_cmp_lt_i64_e32 vcc_lo, -1, v[14:15]
	v_cmp_eq_u32_e64 s0, 0xff, v0
	s_and_b32 s0, s0, vcc_lo
	s_delay_alu instid0(SALU_CYCLE_1)
	s_and_b32 exec_lo, exec_lo, s0
	s_cbranch_execz .LBB91_92
; %bb.91:
	v_mul_f64_e64 v[0:1], v[8:9], -v[4:5]
	v_mul_f64_e32 v[8:9], v[2:3], v[8:9]
	s_delay_alu instid0(VALU_DEP_2) | instskip(NEXT) | instid1(VALU_DEP_2)
	v_fmac_f64_e32 v[0:1], v[2:3], v[6:7]
	v_fmac_f64_e32 v[8:9], v[4:5], v[6:7]
	s_wait_kmcnt 0x0
	v_lshl_add_u64 v[2:3], v[14:15], 4, s[22:23]
	global_atomic_add_f64 v[2:3], v[0:1], off scope:SCOPE_DEV
	s_wait_xcnt 0x0
	global_atomic_add_f64 v[2:3], v[8:9], off offset:8 scope:SCOPE_DEV
.LBB91_92:
	s_endpgm
	.section	.rodata,"a",@progbits
	.p2align	6, 0x0
	.amdhsa_kernel _ZN9rocsparseL19coomvn_atomic_loopsILj256ELj2Eld21rocsparse_complex_numIdES2_S2_EEvlNS_24const_host_device_scalarIT5_EEPKT1_S8_PKT2_PKT3_PT4_21rocsparse_index_base_b
		.amdhsa_group_segment_fixed_size 6144
		.amdhsa_private_segment_fixed_size 0
		.amdhsa_kernarg_size 72
		.amdhsa_user_sgpr_count 2
		.amdhsa_user_sgpr_dispatch_ptr 0
		.amdhsa_user_sgpr_queue_ptr 0
		.amdhsa_user_sgpr_kernarg_segment_ptr 1
		.amdhsa_user_sgpr_dispatch_id 0
		.amdhsa_user_sgpr_kernarg_preload_length 0
		.amdhsa_user_sgpr_kernarg_preload_offset 0
		.amdhsa_user_sgpr_private_segment_size 0
		.amdhsa_wavefront_size32 1
		.amdhsa_uses_dynamic_stack 0
		.amdhsa_enable_private_segment 0
		.amdhsa_system_sgpr_workgroup_id_x 1
		.amdhsa_system_sgpr_workgroup_id_y 0
		.amdhsa_system_sgpr_workgroup_id_z 0
		.amdhsa_system_sgpr_workgroup_info 0
		.amdhsa_system_vgpr_workitem_id 0
		.amdhsa_next_free_vgpr 31
		.amdhsa_next_free_sgpr 26
		.amdhsa_named_barrier_count 0
		.amdhsa_reserve_vcc 1
		.amdhsa_float_round_mode_32 0
		.amdhsa_float_round_mode_16_64 0
		.amdhsa_float_denorm_mode_32 3
		.amdhsa_float_denorm_mode_16_64 3
		.amdhsa_fp16_overflow 0
		.amdhsa_memory_ordered 1
		.amdhsa_forward_progress 1
		.amdhsa_inst_pref_size 25
		.amdhsa_round_robin_scheduling 0
		.amdhsa_exception_fp_ieee_invalid_op 0
		.amdhsa_exception_fp_denorm_src 0
		.amdhsa_exception_fp_ieee_div_zero 0
		.amdhsa_exception_fp_ieee_overflow 0
		.amdhsa_exception_fp_ieee_underflow 0
		.amdhsa_exception_fp_ieee_inexact 0
		.amdhsa_exception_int_div_zero 0
	.end_amdhsa_kernel
	.section	.text._ZN9rocsparseL19coomvn_atomic_loopsILj256ELj2Eld21rocsparse_complex_numIdES2_S2_EEvlNS_24const_host_device_scalarIT5_EEPKT1_S8_PKT2_PKT3_PT4_21rocsparse_index_base_b,"axG",@progbits,_ZN9rocsparseL19coomvn_atomic_loopsILj256ELj2Eld21rocsparse_complex_numIdES2_S2_EEvlNS_24const_host_device_scalarIT5_EEPKT1_S8_PKT2_PKT3_PT4_21rocsparse_index_base_b,comdat
.Lfunc_end91:
	.size	_ZN9rocsparseL19coomvn_atomic_loopsILj256ELj2Eld21rocsparse_complex_numIdES2_S2_EEvlNS_24const_host_device_scalarIT5_EEPKT1_S8_PKT2_PKT3_PT4_21rocsparse_index_base_b, .Lfunc_end91-_ZN9rocsparseL19coomvn_atomic_loopsILj256ELj2Eld21rocsparse_complex_numIdES2_S2_EEvlNS_24const_host_device_scalarIT5_EEPKT1_S8_PKT2_PKT3_PT4_21rocsparse_index_base_b
                                        ; -- End function
	.set _ZN9rocsparseL19coomvn_atomic_loopsILj256ELj2Eld21rocsparse_complex_numIdES2_S2_EEvlNS_24const_host_device_scalarIT5_EEPKT1_S8_PKT2_PKT3_PT4_21rocsparse_index_base_b.num_vgpr, 31
	.set _ZN9rocsparseL19coomvn_atomic_loopsILj256ELj2Eld21rocsparse_complex_numIdES2_S2_EEvlNS_24const_host_device_scalarIT5_EEPKT1_S8_PKT2_PKT3_PT4_21rocsparse_index_base_b.num_agpr, 0
	.set _ZN9rocsparseL19coomvn_atomic_loopsILj256ELj2Eld21rocsparse_complex_numIdES2_S2_EEvlNS_24const_host_device_scalarIT5_EEPKT1_S8_PKT2_PKT3_PT4_21rocsparse_index_base_b.numbered_sgpr, 26
	.set _ZN9rocsparseL19coomvn_atomic_loopsILj256ELj2Eld21rocsparse_complex_numIdES2_S2_EEvlNS_24const_host_device_scalarIT5_EEPKT1_S8_PKT2_PKT3_PT4_21rocsparse_index_base_b.num_named_barrier, 0
	.set _ZN9rocsparseL19coomvn_atomic_loopsILj256ELj2Eld21rocsparse_complex_numIdES2_S2_EEvlNS_24const_host_device_scalarIT5_EEPKT1_S8_PKT2_PKT3_PT4_21rocsparse_index_base_b.private_seg_size, 0
	.set _ZN9rocsparseL19coomvn_atomic_loopsILj256ELj2Eld21rocsparse_complex_numIdES2_S2_EEvlNS_24const_host_device_scalarIT5_EEPKT1_S8_PKT2_PKT3_PT4_21rocsparse_index_base_b.uses_vcc, 1
	.set _ZN9rocsparseL19coomvn_atomic_loopsILj256ELj2Eld21rocsparse_complex_numIdES2_S2_EEvlNS_24const_host_device_scalarIT5_EEPKT1_S8_PKT2_PKT3_PT4_21rocsparse_index_base_b.uses_flat_scratch, 0
	.set _ZN9rocsparseL19coomvn_atomic_loopsILj256ELj2Eld21rocsparse_complex_numIdES2_S2_EEvlNS_24const_host_device_scalarIT5_EEPKT1_S8_PKT2_PKT3_PT4_21rocsparse_index_base_b.has_dyn_sized_stack, 0
	.set _ZN9rocsparseL19coomvn_atomic_loopsILj256ELj2Eld21rocsparse_complex_numIdES2_S2_EEvlNS_24const_host_device_scalarIT5_EEPKT1_S8_PKT2_PKT3_PT4_21rocsparse_index_base_b.has_recursion, 0
	.set _ZN9rocsparseL19coomvn_atomic_loopsILj256ELj2Eld21rocsparse_complex_numIdES2_S2_EEvlNS_24const_host_device_scalarIT5_EEPKT1_S8_PKT2_PKT3_PT4_21rocsparse_index_base_b.has_indirect_call, 0
	.section	.AMDGPU.csdata,"",@progbits
; Kernel info:
; codeLenInByte = 3112
; TotalNumSgprs: 28
; NumVgprs: 31
; ScratchSize: 0
; MemoryBound: 1
; FloatMode: 240
; IeeeMode: 1
; LDSByteSize: 6144 bytes/workgroup (compile time only)
; SGPRBlocks: 0
; VGPRBlocks: 1
; NumSGPRsForWavesPerEU: 28
; NumVGPRsForWavesPerEU: 31
; NamedBarCnt: 0
; Occupancy: 16
; WaveLimiterHint : 1
; COMPUTE_PGM_RSRC2:SCRATCH_EN: 0
; COMPUTE_PGM_RSRC2:USER_SGPR: 2
; COMPUTE_PGM_RSRC2:TRAP_HANDLER: 0
; COMPUTE_PGM_RSRC2:TGID_X_EN: 1
; COMPUTE_PGM_RSRC2:TGID_Y_EN: 0
; COMPUTE_PGM_RSRC2:TGID_Z_EN: 0
; COMPUTE_PGM_RSRC2:TIDIG_COMP_CNT: 0
	.section	.text._ZN9rocsparseL22coomvn_segmented_loopsILj256EifdddEEvlT0_NS_24const_host_device_scalarIT4_EEPKS1_S6_PKT1_PKT2_PT3_PS1_PS3_21rocsparse_index_base_b,"axG",@progbits,_ZN9rocsparseL22coomvn_segmented_loopsILj256EifdddEEvlT0_NS_24const_host_device_scalarIT4_EEPKS1_S6_PKT1_PKT2_PT3_PS1_PS3_21rocsparse_index_base_b,comdat
	.globl	_ZN9rocsparseL22coomvn_segmented_loopsILj256EifdddEEvlT0_NS_24const_host_device_scalarIT4_EEPKS1_S6_PKT1_PKT2_PT3_PS1_PS3_21rocsparse_index_base_b ; -- Begin function _ZN9rocsparseL22coomvn_segmented_loopsILj256EifdddEEvlT0_NS_24const_host_device_scalarIT4_EEPKS1_S6_PKT1_PKT2_PT3_PS1_PS3_21rocsparse_index_base_b
	.p2align	8
	.type	_ZN9rocsparseL22coomvn_segmented_loopsILj256EifdddEEvlT0_NS_24const_host_device_scalarIT4_EEPKS1_S6_PKT1_PKT2_PT3_PS1_PS3_21rocsparse_index_base_b,@function
_ZN9rocsparseL22coomvn_segmented_loopsILj256EifdddEEvlT0_NS_24const_host_device_scalarIT4_EEPKS1_S6_PKT1_PKT2_PT3_PS1_PS3_21rocsparse_index_base_b: ; @_ZN9rocsparseL22coomvn_segmented_loopsILj256EifdddEEvlT0_NS_24const_host_device_scalarIT4_EEPKS1_S6_PKT1_PKT2_PT3_PS1_PS3_21rocsparse_index_base_b
; %bb.0:
	s_clause 0x1
	s_load_b64 s[28:29], s[0:1], 0x50
	s_load_b64 s[2:3], s[0:1], 0x10
	s_wait_kmcnt 0x0
	s_bitcmp1_b32 s29, 0
	v_mov_b64_e32 v[2:3], s[2:3]
	s_cselect_b32 s4, -1, 0
	s_delay_alu instid0(SALU_CYCLE_1)
	s_and_b32 vcc_lo, exec_lo, s4
	s_cbranch_vccnz .LBB92_2
; %bb.1:
	v_mov_b32_e32 v1, 0
	flat_load_b64 v[2:3], v1, s[2:3]
.LBB92_2:
	s_wait_xcnt 0x0
	s_mov_b32 s2, exec_lo
	s_wait_loadcnt_dscnt 0x0
	v_cmpx_neq_f64_e32 0, v[2:3]
	s_cbranch_execz .LBB92_89
; %bb.3:
	s_clause 0x1
	s_load_b96 s[24:26], s[0:1], 0x0
	s_load_b256 s[16:23], s[0:1], 0x18
	s_bfe_u32 s2, ttmp6, 0x4000c
	s_and_b32 s3, ttmp6, 15
	s_add_co_i32 s2, s2, 1
	s_getreg_b32 s4, hwreg(HW_REG_IB_STS2, 6, 4)
	s_mul_i32 s2, ttmp9, s2
	v_mov_b64_e32 v[4:5], 0
	s_add_co_i32 s3, s3, s2
	s_cmp_eq_u32 s4, 0
	v_dual_mov_b32 v7, 0 :: v_dual_mov_b32 v16, -1
	s_cselect_b32 s27, ttmp9, s3
	s_wait_kmcnt 0x0
	s_mul_i32 s2, s27, s26
	s_delay_alu instid0(SALU_CYCLE_1) | instskip(SKIP_1) | instid1(VALU_DEP_1)
	v_lshl_or_b32 v6, s2, 8, v0
	s_mov_b32 s2, exec_lo
	v_cmpx_gt_i64_e64 s[24:25], v[6:7]
	s_cbranch_execz .LBB92_5
; %bb.4:
	v_lshlrev_b64_e32 v[4:5], 2, v[6:7]
	s_ashr_i32 s29, s28, 31
	s_delay_alu instid0(SALU_CYCLE_1) | instskip(NEXT) | instid1(VALU_DEP_1)
	s_lshl_b64 s[4:5], s[28:29], 3
	v_add_nc_u64_e32 v[8:9], s[18:19], v[4:5]
	v_add_nc_u64_e32 v[10:11], s[20:21], v[4:5]
	;; [unrolled: 1-line block ×3, first 2 shown]
	global_load_b32 v8, v[8:9], off th:TH_LOAD_NT
	global_load_b32 v1, v[10:11], off th:TH_LOAD_NT
	;; [unrolled: 1-line block ×3, first 2 shown]
	s_wait_loadcnt 0x2
	v_ashrrev_i32_e32 v9, 31, v8
	s_wait_loadcnt 0x1
	s_wait_xcnt 0x0
	v_cvt_f64_f32_e32 v[4:5], v1
	s_wait_loadcnt 0x0
	v_subrev_nc_u32_e32 v16, s28, v10
	v_lshl_add_u64 v[8:9], v[8:9], 3, s[22:23]
	s_delay_alu instid0(VALU_DEP_1)
	v_sub_nc_u64_e64 v[8:9], v[8:9], s[4:5]
	global_load_b64 v[8:9], v[8:9], off
	s_wait_loadcnt 0x0
	v_mul_f64_e32 v[4:5], v[8:9], v[4:5]
.LBB92_5:
	s_or_b32 exec_lo, exec_lo, s2
	v_dual_lshlrev_b32 v8, 2, v0 :: v_dual_lshlrev_b32 v1, 3, v0
	v_cmp_eq_u32_e64 s2, 0, v0
	v_cmp_ne_u32_e64 s3, 0, v0
	ds_store_b32 v8, v16 offset:2048
	ds_store_b64 v1, v[4:5]
	v_or_b32_e32 v14, 0x800, v8
	s_wait_dscnt 0x0
	s_barrier_signal -1
	s_barrier_wait -1
	s_delay_alu instid0(VALU_DEP_1)
	v_add_nc_u32_e32 v15, -4, v14
	s_and_saveexec_b32 s4, s3
	s_cbranch_execz .LBB92_9
; %bb.6:
	ds_load_b32 v8, v15
	s_mov_b32 s5, exec_lo
	s_wait_dscnt 0x0
	v_cmpx_eq_u32_e64 v16, v8
	s_cbranch_execz .LBB92_8
; %bb.7:
	v_add_nc_u32_e32 v8, -8, v1
	ds_load_b64 v[8:9], v8
	s_wait_dscnt 0x0
	v_add_f64_e32 v[4:5], v[4:5], v[8:9]
.LBB92_8:
	s_or_b32 exec_lo, exec_lo, s5
.LBB92_9:
	s_delay_alu instid0(SALU_CYCLE_1)
	s_or_b32 exec_lo, exec_lo, s4
	v_cmp_lt_u32_e64 s4, 1, v0
	v_add_nc_u32_e32 v17, -8, v14
	s_barrier_signal -1
	s_barrier_wait -1
	ds_store_b64 v1, v[4:5]
	s_wait_dscnt 0x0
	s_barrier_signal -1
	s_barrier_wait -1
	s_and_saveexec_b32 s5, s4
	s_cbranch_execz .LBB92_13
; %bb.10:
	ds_load_b32 v8, v17
	s_mov_b32 s6, exec_lo
	s_wait_dscnt 0x0
	v_cmpx_eq_u32_e64 v16, v8
	s_cbranch_execz .LBB92_12
; %bb.11:
	v_add_nc_u32_e32 v8, -16, v1
	ds_load_b64 v[8:9], v8
	s_wait_dscnt 0x0
	v_add_f64_e32 v[4:5], v[4:5], v[8:9]
.LBB92_12:
	s_or_b32 exec_lo, exec_lo, s6
.LBB92_13:
	s_delay_alu instid0(SALU_CYCLE_1)
	s_or_b32 exec_lo, exec_lo, s5
	v_cmp_lt_u32_e64 s5, 3, v0
	v_add_nc_u32_e32 v18, -16, v14
	s_barrier_signal -1
	s_barrier_wait -1
	ds_store_b64 v1, v[4:5]
	s_wait_dscnt 0x0
	s_barrier_signal -1
	s_barrier_wait -1
	s_and_saveexec_b32 s6, s5
	s_cbranch_execz .LBB92_17
; %bb.14:
	ds_load_b32 v8, v18
	s_mov_b32 s7, exec_lo
	s_wait_dscnt 0x0
	v_cmpx_eq_u32_e64 v16, v8
	s_cbranch_execz .LBB92_16
; %bb.15:
	v_subrev_nc_u32_e32 v8, 32, v1
	ds_load_b64 v[8:9], v8
	s_wait_dscnt 0x0
	v_add_f64_e32 v[4:5], v[4:5], v[8:9]
.LBB92_16:
	s_or_b32 exec_lo, exec_lo, s7
.LBB92_17:
	s_delay_alu instid0(SALU_CYCLE_1)
	s_or_b32 exec_lo, exec_lo, s6
	v_cmp_lt_u32_e64 s6, 7, v0
	v_subrev_nc_u32_e32 v19, 32, v14
	s_barrier_signal -1
	s_barrier_wait -1
	ds_store_b64 v1, v[4:5]
	s_wait_dscnt 0x0
	s_barrier_signal -1
	s_barrier_wait -1
	s_and_saveexec_b32 s7, s6
	s_cbranch_execz .LBB92_21
; %bb.18:
	ds_load_b32 v8, v19
	s_mov_b32 s8, exec_lo
	s_wait_dscnt 0x0
	v_cmpx_eq_u32_e64 v16, v8
	s_cbranch_execz .LBB92_20
; %bb.19:
	v_subrev_nc_u32_e32 v8, 64, v1
	ds_load_b64 v[8:9], v8
	s_wait_dscnt 0x0
	v_add_f64_e32 v[4:5], v[4:5], v[8:9]
.LBB92_20:
	s_or_b32 exec_lo, exec_lo, s8
.LBB92_21:
	s_delay_alu instid0(SALU_CYCLE_1)
	s_or_b32 exec_lo, exec_lo, s7
	v_cmp_lt_u32_e64 s7, 15, v0
	v_subrev_nc_u32_e32 v20, 64, v14
	s_barrier_signal -1
	s_barrier_wait -1
	ds_store_b64 v1, v[4:5]
	s_wait_dscnt 0x0
	s_barrier_signal -1
	s_barrier_wait -1
	s_and_saveexec_b32 s8, s7
	s_cbranch_execz .LBB92_25
; %bb.22:
	ds_load_b32 v8, v20
	s_mov_b32 s9, exec_lo
	s_wait_dscnt 0x0
	v_cmpx_eq_u32_e64 v16, v8
	s_cbranch_execz .LBB92_24
; %bb.23:
	v_add_nc_u32_e32 v8, 0xffffff80, v1
	ds_load_b64 v[8:9], v8
	s_wait_dscnt 0x0
	v_add_f64_e32 v[4:5], v[4:5], v[8:9]
.LBB92_24:
	s_or_b32 exec_lo, exec_lo, s9
.LBB92_25:
	s_delay_alu instid0(SALU_CYCLE_1)
	s_or_b32 exec_lo, exec_lo, s8
	v_cmp_lt_u32_e64 s8, 31, v0
	v_add_nc_u32_e32 v21, 0xffffff80, v14
	s_barrier_signal -1
	s_barrier_wait -1
	ds_store_b64 v1, v[4:5]
	s_wait_dscnt 0x0
	s_barrier_signal -1
	s_barrier_wait -1
	s_and_saveexec_b32 s9, s8
	s_cbranch_execz .LBB92_29
; %bb.26:
	ds_load_b32 v8, v21
	s_mov_b32 s10, exec_lo
	s_wait_dscnt 0x0
	v_cmpx_eq_u32_e64 v16, v8
	s_cbranch_execz .LBB92_28
; %bb.27:
	v_add_nc_u32_e32 v8, 0xffffff00, v1
	ds_load_b64 v[8:9], v8
	s_wait_dscnt 0x0
	v_add_f64_e32 v[4:5], v[4:5], v[8:9]
.LBB92_28:
	s_or_b32 exec_lo, exec_lo, s10
.LBB92_29:
	s_delay_alu instid0(SALU_CYCLE_1)
	s_or_b32 exec_lo, exec_lo, s9
	v_cmp_lt_u32_e64 s9, 63, v0
	v_add_nc_u32_e32 v22, 0xffffff00, v14
	s_barrier_signal -1
	s_barrier_wait -1
	ds_store_b64 v1, v[4:5]
	s_wait_dscnt 0x0
	s_barrier_signal -1
	s_barrier_wait -1
	s_and_saveexec_b32 s10, s9
	s_cbranch_execz .LBB92_33
; %bb.30:
	ds_load_b32 v8, v22
	s_mov_b32 s11, exec_lo
	s_wait_dscnt 0x0
	v_cmpx_eq_u32_e64 v16, v8
	s_cbranch_execz .LBB92_32
; %bb.31:
	v_add_nc_u32_e32 v8, 0xfffffe00, v1
	ds_load_b64 v[8:9], v8
	s_wait_dscnt 0x0
	v_add_f64_e32 v[4:5], v[4:5], v[8:9]
.LBB92_32:
	s_or_b32 exec_lo, exec_lo, s11
.LBB92_33:
	s_delay_alu instid0(SALU_CYCLE_1)
	s_or_b32 exec_lo, exec_lo, s10
	s_load_b64 s[30:31], s[0:1], 0x38
	v_cmp_lt_u32_e64 s10, 0x7f, v0
	v_add_nc_u32_e32 v23, 0xfffffe00, v14
	s_barrier_signal -1
	s_barrier_wait -1
	ds_store_b64 v1, v[4:5]
	s_wait_dscnt 0x0
	s_barrier_signal -1
	s_barrier_wait -1
	s_and_saveexec_b32 s11, s10
	s_cbranch_execz .LBB92_37
; %bb.34:
	ds_load_b32 v8, v23
	s_mov_b32 s12, exec_lo
	s_wait_dscnt 0x0
	v_cmpx_eq_u32_e64 v16, v8
	s_cbranch_execz .LBB92_36
; %bb.35:
	v_add_nc_u32_e32 v8, 0xfffffc00, v1
	ds_load_b64 v[8:9], v8
	s_wait_dscnt 0x0
	v_add_f64_e32 v[4:5], v[4:5], v[8:9]
.LBB92_36:
	s_or_b32 exec_lo, exec_lo, s12
.LBB92_37:
	s_delay_alu instid0(SALU_CYCLE_1)
	s_or_b32 exec_lo, exec_lo, s11
	v_cmp_gt_u32_e64 s11, 0xff, v0
	s_barrier_signal -1
	s_barrier_wait -1
	ds_store_b64 v1, v[4:5]
	s_wait_dscnt 0x0
	s_barrier_signal -1
	s_barrier_wait -1
	s_and_saveexec_b32 s13, s11
	s_cbranch_execz .LBB92_40
; %bb.38:
	ds_load_b32 v8, v14 offset:4
	v_cmp_lt_i32_e64 s12, -1, v16
	s_wait_dscnt 0x0
	v_cmp_ne_u32_e32 vcc_lo, v16, v8
	s_and_b32 s12, s12, vcc_lo
	s_delay_alu instid0(SALU_CYCLE_1)
	s_and_b32 exec_lo, exec_lo, s12
	s_cbranch_execz .LBB92_40
; %bb.39:
	s_wait_kmcnt 0x0
	global_load_b64 v[8:9], v16, s[30:31] scale_offset
	s_wait_loadcnt 0x0
	v_fmac_f64_e32 v[8:9], v[2:3], v[4:5]
	global_store_b64 v16, v[8:9], s[30:31] scale_offset
.LBB92_40:
	s_wait_xcnt 0x0
	s_or_b32 exec_lo, exec_lo, s13
	s_load_b128 s[12:15], s[0:1], 0x40
	s_cmp_lt_i32 s26, 2
	s_cbranch_scc1 .LBB92_87
; %bb.41:
	v_lshl_add_u64 v[4:5], v[6:7], 2, 0x400
	v_add_nc_u64_e32 v[6:7], 0x100, v[6:7]
	s_ashr_i32 s29, s28, 31
	v_dual_add_nc_u32 v24, -8, v1 :: v_dual_add_nc_u32 v25, -16, v1
	s_delay_alu instid0(VALU_DEP_3)
	v_add_nc_u64_e32 v[8:9], s[18:19], v[4:5]
	v_add_nc_u64_e32 v[10:11], s[20:21], v[4:5]
	;; [unrolled: 1-line block ×3, first 2 shown]
	v_subrev_nc_u32_e32 v26, 32, v1
	v_subrev_nc_u32_e32 v27, 64, v1
	v_add_nc_u32_e32 v28, 0xffffff80, v1
	v_dual_mov_b32 v32, 0 :: v_dual_add_nc_u32 v29, 0xffffff00, v1
	v_add_nc_u32_e32 v30, 0xfffffe00, v1
	v_add_nc_u32_e32 v31, 0xfffffc00, v1
	s_wait_xcnt 0x0
	s_lshl_b64 s[0:1], s[28:29], 3
	s_delay_alu instid0(SALU_CYCLE_1)
	s_sub_nc_u64 s[16:17], s[22:23], s[0:1]
	s_add_co_i32 s1, s26, -1
	s_branch .LBB92_43
.LBB92_42:                              ;   in Loop: Header=BB92_43 Depth=1
	s_wait_xcnt 0x0
	s_or_b32 exec_lo, exec_lo, s18
	v_add_nc_u64_e32 v[8:9], 0x400, v[8:9]
	v_add_nc_u64_e32 v[10:11], 0x400, v[10:11]
	;; [unrolled: 1-line block ×4, first 2 shown]
	s_add_co_i32 s1, s1, -1
	s_delay_alu instid0(SALU_CYCLE_1)
	s_cmp_eq_u32 s1, 0
	s_cbranch_scc1 .LBB92_87
.LBB92_43:                              ; =>This Inner Loop Header: Depth=1
	v_mov_b64_e32 v[4:5], 0
	v_mov_b32_e32 v16, -1
	s_mov_b32 s0, exec_lo
	v_cmpx_gt_i64_e64 s[24:25], v[6:7]
	s_cbranch_execz .LBB92_45
; %bb.44:                               ;   in Loop: Header=BB92_43 Depth=1
	global_load_b32 v16, v[8:9], off th:TH_LOAD_NT
	global_load_b32 v33, v[10:11], off th:TH_LOAD_NT
	s_wait_loadcnt 0x1
	global_load_b64 v[4:5], v16, s[16:17] scale_offset
	global_load_b32 v36, v[12:13], off th:TH_LOAD_NT
	s_wait_loadcnt 0x2
	v_cvt_f64_f32_e32 v[34:35], v33
	s_wait_loadcnt 0x1
	s_delay_alu instid0(VALU_DEP_1)
	v_mul_f64_e32 v[4:5], v[4:5], v[34:35]
	s_wait_loadcnt 0x0
	s_wait_xcnt 0x1
	v_subrev_nc_u32_e32 v16, s28, v36
.LBB92_45:                              ;   in Loop: Header=BB92_43 Depth=1
	s_wait_xcnt 0x0
	s_or_b32 exec_lo, exec_lo, s0
	s_and_saveexec_b32 s0, s2
	s_cbranch_execz .LBB92_52
; %bb.46:                               ;   in Loop: Header=BB92_43 Depth=1
	ds_load_b32 v33, v32 offset:3068
	s_mov_b32 s18, exec_lo
	s_wait_dscnt 0x0
	v_cmpx_ne_u32_e64 v16, v33
	s_xor_b32 s18, exec_lo, s18
	s_cbranch_execz .LBB92_49
; %bb.47:                               ;   in Loop: Header=BB92_43 Depth=1
	v_cmp_gt_i32_e32 vcc_lo, 0, v33
	s_cbranch_vccnz .LBB92_49
; %bb.48:                               ;   in Loop: Header=BB92_43 Depth=1
	s_wait_kmcnt 0x0
	global_load_b64 v[34:35], v33, s[30:31] scale_offset
	ds_load_b64 v[36:37], v32 offset:2040
	s_wait_loadcnt_dscnt 0x0
	v_fmac_f64_e32 v[34:35], v[2:3], v[36:37]
	global_store_b64 v33, v[34:35], s[30:31] scale_offset
.LBB92_49:                              ;   in Loop: Header=BB92_43 Depth=1
	s_wait_xcnt 0x0
	s_and_not1_saveexec_b32 s18, s18
	s_cbranch_execz .LBB92_51
; %bb.50:                               ;   in Loop: Header=BB92_43 Depth=1
	ds_load_b64 v[34:35], v32 offset:2040
	s_wait_dscnt 0x0
	v_add_f64_e32 v[4:5], v[4:5], v[34:35]
.LBB92_51:                              ;   in Loop: Header=BB92_43 Depth=1
	s_or_b32 exec_lo, exec_lo, s18
.LBB92_52:                              ;   in Loop: Header=BB92_43 Depth=1
	s_delay_alu instid0(SALU_CYCLE_1)
	s_or_b32 exec_lo, exec_lo, s0
	s_wait_storecnt 0x0
	s_barrier_signal -1
	s_barrier_wait -1
	ds_store_b32 v14, v16
	ds_store_b64 v1, v[4:5]
	s_wait_dscnt 0x0
	s_barrier_signal -1
	s_barrier_wait -1
	s_and_saveexec_b32 s0, s3
	s_cbranch_execz .LBB92_56
; %bb.53:                               ;   in Loop: Header=BB92_43 Depth=1
	ds_load_b32 v33, v15
	s_mov_b32 s18, exec_lo
	s_wait_dscnt 0x0
	v_cmpx_eq_u32_e64 v16, v33
	s_cbranch_execz .LBB92_55
; %bb.54:                               ;   in Loop: Header=BB92_43 Depth=1
	ds_load_b64 v[34:35], v24
	s_wait_dscnt 0x0
	v_add_f64_e32 v[4:5], v[4:5], v[34:35]
.LBB92_55:                              ;   in Loop: Header=BB92_43 Depth=1
	s_or_b32 exec_lo, exec_lo, s18
.LBB92_56:                              ;   in Loop: Header=BB92_43 Depth=1
	s_delay_alu instid0(SALU_CYCLE_1)
	s_or_b32 exec_lo, exec_lo, s0
	s_barrier_signal -1
	s_barrier_wait -1
	ds_store_b64 v1, v[4:5]
	s_wait_dscnt 0x0
	s_barrier_signal -1
	s_barrier_wait -1
	s_and_saveexec_b32 s0, s4
	s_cbranch_execz .LBB92_60
; %bb.57:                               ;   in Loop: Header=BB92_43 Depth=1
	ds_load_b32 v33, v17
	s_mov_b32 s18, exec_lo
	s_wait_dscnt 0x0
	v_cmpx_eq_u32_e64 v16, v33
	s_cbranch_execz .LBB92_59
; %bb.58:                               ;   in Loop: Header=BB92_43 Depth=1
	ds_load_b64 v[34:35], v25
	s_wait_dscnt 0x0
	v_add_f64_e32 v[4:5], v[4:5], v[34:35]
.LBB92_59:                              ;   in Loop: Header=BB92_43 Depth=1
	s_or_b32 exec_lo, exec_lo, s18
.LBB92_60:                              ;   in Loop: Header=BB92_43 Depth=1
	s_delay_alu instid0(SALU_CYCLE_1)
	s_or_b32 exec_lo, exec_lo, s0
	s_barrier_signal -1
	s_barrier_wait -1
	;; [unrolled: 23-line block ×8, first 2 shown]
	ds_store_b64 v1, v[4:5]
	s_wait_dscnt 0x0
	s_barrier_signal -1
	s_barrier_wait -1
	s_and_saveexec_b32 s18, s11
	s_cbranch_execz .LBB92_42
; %bb.85:                               ;   in Loop: Header=BB92_43 Depth=1
	ds_load_b32 v33, v14 offset:4
	v_cmp_lt_i32_e64 s0, -1, v16
	s_wait_dscnt 0x0
	v_cmp_ne_u32_e32 vcc_lo, v16, v33
	s_and_b32 s0, s0, vcc_lo
	s_delay_alu instid0(SALU_CYCLE_1)
	s_and_b32 exec_lo, exec_lo, s0
	s_cbranch_execz .LBB92_42
; %bb.86:                               ;   in Loop: Header=BB92_43 Depth=1
	s_wait_kmcnt 0x0
	global_load_b64 v[34:35], v16, s[30:31] scale_offset
	s_wait_loadcnt 0x0
	v_fmac_f64_e32 v[34:35], v[2:3], v[4:5]
	global_store_b64 v16, v[34:35], s[30:31] scale_offset
	s_branch .LBB92_42
.LBB92_87:
	v_cmp_eq_u32_e32 vcc_lo, 0xff, v0
	s_and_b32 exec_lo, exec_lo, vcc_lo
	s_cbranch_execz .LBB92_89
; %bb.88:
	v_dual_mul_f64 v[0:1], v[2:3], v[4:5] :: v_dual_mov_b32 v2, s27
	s_wait_kmcnt 0x0
	s_clause 0x1
	global_store_b32 v2, v16, s[12:13] scale_offset th:TH_STORE_NT
	global_store_b64 v2, v[0:1], s[14:15] scale_offset th:TH_STORE_NT
.LBB92_89:
	s_endpgm
	.section	.rodata,"a",@progbits
	.p2align	6, 0x0
	.amdhsa_kernel _ZN9rocsparseL22coomvn_segmented_loopsILj256EifdddEEvlT0_NS_24const_host_device_scalarIT4_EEPKS1_S6_PKT1_PKT2_PT3_PS1_PS3_21rocsparse_index_base_b
		.amdhsa_group_segment_fixed_size 3072
		.amdhsa_private_segment_fixed_size 0
		.amdhsa_kernarg_size 88
		.amdhsa_user_sgpr_count 2
		.amdhsa_user_sgpr_dispatch_ptr 0
		.amdhsa_user_sgpr_queue_ptr 0
		.amdhsa_user_sgpr_kernarg_segment_ptr 1
		.amdhsa_user_sgpr_dispatch_id 0
		.amdhsa_user_sgpr_kernarg_preload_length 0
		.amdhsa_user_sgpr_kernarg_preload_offset 0
		.amdhsa_user_sgpr_private_segment_size 0
		.amdhsa_wavefront_size32 1
		.amdhsa_uses_dynamic_stack 0
		.amdhsa_enable_private_segment 0
		.amdhsa_system_sgpr_workgroup_id_x 1
		.amdhsa_system_sgpr_workgroup_id_y 0
		.amdhsa_system_sgpr_workgroup_id_z 0
		.amdhsa_system_sgpr_workgroup_info 0
		.amdhsa_system_vgpr_workitem_id 0
		.amdhsa_next_free_vgpr 38
		.amdhsa_next_free_sgpr 32
		.amdhsa_named_barrier_count 0
		.amdhsa_reserve_vcc 1
		.amdhsa_float_round_mode_32 0
		.amdhsa_float_round_mode_16_64 0
		.amdhsa_float_denorm_mode_32 3
		.amdhsa_float_denorm_mode_16_64 3
		.amdhsa_fp16_overflow 0
		.amdhsa_memory_ordered 1
		.amdhsa_forward_progress 1
		.amdhsa_inst_pref_size 22
		.amdhsa_round_robin_scheduling 0
		.amdhsa_exception_fp_ieee_invalid_op 0
		.amdhsa_exception_fp_denorm_src 0
		.amdhsa_exception_fp_ieee_div_zero 0
		.amdhsa_exception_fp_ieee_overflow 0
		.amdhsa_exception_fp_ieee_underflow 0
		.amdhsa_exception_fp_ieee_inexact 0
		.amdhsa_exception_int_div_zero 0
	.end_amdhsa_kernel
	.section	.text._ZN9rocsparseL22coomvn_segmented_loopsILj256EifdddEEvlT0_NS_24const_host_device_scalarIT4_EEPKS1_S6_PKT1_PKT2_PT3_PS1_PS3_21rocsparse_index_base_b,"axG",@progbits,_ZN9rocsparseL22coomvn_segmented_loopsILj256EifdddEEvlT0_NS_24const_host_device_scalarIT4_EEPKS1_S6_PKT1_PKT2_PT3_PS1_PS3_21rocsparse_index_base_b,comdat
.Lfunc_end92:
	.size	_ZN9rocsparseL22coomvn_segmented_loopsILj256EifdddEEvlT0_NS_24const_host_device_scalarIT4_EEPKS1_S6_PKT1_PKT2_PT3_PS1_PS3_21rocsparse_index_base_b, .Lfunc_end92-_ZN9rocsparseL22coomvn_segmented_loopsILj256EifdddEEvlT0_NS_24const_host_device_scalarIT4_EEPKS1_S6_PKT1_PKT2_PT3_PS1_PS3_21rocsparse_index_base_b
                                        ; -- End function
	.set _ZN9rocsparseL22coomvn_segmented_loopsILj256EifdddEEvlT0_NS_24const_host_device_scalarIT4_EEPKS1_S6_PKT1_PKT2_PT3_PS1_PS3_21rocsparse_index_base_b.num_vgpr, 38
	.set _ZN9rocsparseL22coomvn_segmented_loopsILj256EifdddEEvlT0_NS_24const_host_device_scalarIT4_EEPKS1_S6_PKT1_PKT2_PT3_PS1_PS3_21rocsparse_index_base_b.num_agpr, 0
	.set _ZN9rocsparseL22coomvn_segmented_loopsILj256EifdddEEvlT0_NS_24const_host_device_scalarIT4_EEPKS1_S6_PKT1_PKT2_PT3_PS1_PS3_21rocsparse_index_base_b.numbered_sgpr, 32
	.set _ZN9rocsparseL22coomvn_segmented_loopsILj256EifdddEEvlT0_NS_24const_host_device_scalarIT4_EEPKS1_S6_PKT1_PKT2_PT3_PS1_PS3_21rocsparse_index_base_b.num_named_barrier, 0
	.set _ZN9rocsparseL22coomvn_segmented_loopsILj256EifdddEEvlT0_NS_24const_host_device_scalarIT4_EEPKS1_S6_PKT1_PKT2_PT3_PS1_PS3_21rocsparse_index_base_b.private_seg_size, 0
	.set _ZN9rocsparseL22coomvn_segmented_loopsILj256EifdddEEvlT0_NS_24const_host_device_scalarIT4_EEPKS1_S6_PKT1_PKT2_PT3_PS1_PS3_21rocsparse_index_base_b.uses_vcc, 1
	.set _ZN9rocsparseL22coomvn_segmented_loopsILj256EifdddEEvlT0_NS_24const_host_device_scalarIT4_EEPKS1_S6_PKT1_PKT2_PT3_PS1_PS3_21rocsparse_index_base_b.uses_flat_scratch, 0
	.set _ZN9rocsparseL22coomvn_segmented_loopsILj256EifdddEEvlT0_NS_24const_host_device_scalarIT4_EEPKS1_S6_PKT1_PKT2_PT3_PS1_PS3_21rocsparse_index_base_b.has_dyn_sized_stack, 0
	.set _ZN9rocsparseL22coomvn_segmented_loopsILj256EifdddEEvlT0_NS_24const_host_device_scalarIT4_EEPKS1_S6_PKT1_PKT2_PT3_PS1_PS3_21rocsparse_index_base_b.has_recursion, 0
	.set _ZN9rocsparseL22coomvn_segmented_loopsILj256EifdddEEvlT0_NS_24const_host_device_scalarIT4_EEPKS1_S6_PKT1_PKT2_PT3_PS1_PS3_21rocsparse_index_base_b.has_indirect_call, 0
	.section	.AMDGPU.csdata,"",@progbits
; Kernel info:
; codeLenInByte = 2760
; TotalNumSgprs: 34
; NumVgprs: 38
; ScratchSize: 0
; MemoryBound: 0
; FloatMode: 240
; IeeeMode: 1
; LDSByteSize: 3072 bytes/workgroup (compile time only)
; SGPRBlocks: 0
; VGPRBlocks: 2
; NumSGPRsForWavesPerEU: 34
; NumVGPRsForWavesPerEU: 38
; NamedBarCnt: 0
; Occupancy: 16
; WaveLimiterHint : 1
; COMPUTE_PGM_RSRC2:SCRATCH_EN: 0
; COMPUTE_PGM_RSRC2:USER_SGPR: 2
; COMPUTE_PGM_RSRC2:TRAP_HANDLER: 0
; COMPUTE_PGM_RSRC2:TGID_X_EN: 1
; COMPUTE_PGM_RSRC2:TGID_Y_EN: 0
; COMPUTE_PGM_RSRC2:TGID_Z_EN: 0
; COMPUTE_PGM_RSRC2:TIDIG_COMP_CNT: 0
	.section	.text._ZN9rocsparseL13coomvt_kernelILj1024EifdddEEv20rocsparse_operation_lNS_24const_host_device_scalarIT4_EEPKT0_S7_PKT1_PKT2_PT3_21rocsparse_index_base_b,"axG",@progbits,_ZN9rocsparseL13coomvt_kernelILj1024EifdddEEv20rocsparse_operation_lNS_24const_host_device_scalarIT4_EEPKT0_S7_PKT1_PKT2_PT3_21rocsparse_index_base_b,comdat
	.globl	_ZN9rocsparseL13coomvt_kernelILj1024EifdddEEv20rocsparse_operation_lNS_24const_host_device_scalarIT4_EEPKT0_S7_PKT1_PKT2_PT3_21rocsparse_index_base_b ; -- Begin function _ZN9rocsparseL13coomvt_kernelILj1024EifdddEEv20rocsparse_operation_lNS_24const_host_device_scalarIT4_EEPKT0_S7_PKT1_PKT2_PT3_21rocsparse_index_base_b
	.p2align	8
	.type	_ZN9rocsparseL13coomvt_kernelILj1024EifdddEEv20rocsparse_operation_lNS_24const_host_device_scalarIT4_EEPKT0_S7_PKT1_PKT2_PT3_21rocsparse_index_base_b,@function
_ZN9rocsparseL13coomvt_kernelILj1024EifdddEEv20rocsparse_operation_lNS_24const_host_device_scalarIT4_EEPKT0_S7_PKT1_PKT2_PT3_21rocsparse_index_base_b: ; @_ZN9rocsparseL13coomvt_kernelILj1024EifdddEEv20rocsparse_operation_lNS_24const_host_device_scalarIT4_EEPKT0_S7_PKT1_PKT2_PT3_21rocsparse_index_base_b
; %bb.0:
	s_clause 0x1
	s_load_b64 s[2:3], s[0:1], 0x40
	s_load_b128 s[4:7], s[0:1], 0x8
	s_wait_kmcnt 0x0
	s_bitcmp1_b32 s3, 0
	v_mov_b64_e32 v[2:3], s[6:7]
	s_cselect_b32 s3, -1, 0
	s_delay_alu instid0(SALU_CYCLE_1)
	s_and_b32 vcc_lo, exec_lo, s3
	s_cbranch_vccnz .LBB93_2
; %bb.1:
	v_mov_b32_e32 v1, 0
	flat_load_b64 v[2:3], v1, s[6:7]
.LBB93_2:
	s_mov_b32 s3, exec_lo
	s_wait_loadcnt_dscnt 0x0
	s_delay_alu instid0(VALU_DEP_1)
	v_cmpx_neq_f64_e32 0, v[2:3]
	s_cbranch_execz .LBB93_5
; %bb.3:
	s_load_b32 s3, s[0:1], 0x54
	s_bfe_u32 s6, ttmp6, 0x4000c
	s_and_b32 s7, ttmp6, 15
	s_add_co_i32 s6, s6, 1
	s_getreg_b32 s8, hwreg(HW_REG_IB_STS2, 6, 4)
	s_mul_i32 s6, ttmp9, s6
	v_mov_b32_e32 v1, 0
	s_add_co_i32 s7, s7, s6
	s_wait_kmcnt 0x0
	s_and_b32 s3, s3, 0xffff
	s_cmp_eq_u32 s8, 0
	s_cselect_b32 s6, ttmp9, s7
	s_delay_alu instid0(SALU_CYCLE_1) | instskip(NEXT) | instid1(VALU_DEP_1)
	v_mad_u32 v0, s6, s3, v0
	v_cmp_gt_i64_e32 vcc_lo, s[4:5], v[0:1]
	s_and_b32 exec_lo, exec_lo, vcc_lo
	s_cbranch_execz .LBB93_5
; %bb.4:
	s_load_b256 s[4:11], s[0:1], 0x18
	v_lshlrev_b64_e32 v[0:1], 2, v[0:1]
	s_wait_xcnt 0x0
	s_load_b64 s[0:1], s[0:1], 0x38
	s_wait_kmcnt 0x0
	s_delay_alu instid0(VALU_DEP_1)
	v_add_nc_u64_e32 v[4:5], s[4:5], v[0:1]
	global_load_b32 v6, v[4:5], off
	s_wait_xcnt 0x0
	v_add_nc_u64_e32 v[4:5], s[8:9], v[0:1]
	v_add_nc_u64_e32 v[0:1], s[6:7], v[0:1]
	global_load_b32 v7, v[4:5], off
	s_wait_loadcnt 0x1
	s_wait_xcnt 0x0
	v_subrev_nc_u32_e32 v4, s2, v6
	global_load_b32 v6, v[0:1], off
	global_load_b64 v[4:5], v4, s[10:11] scale_offset
	s_wait_loadcnt 0x2
	s_wait_xcnt 0x1
	v_cvt_f64_f32_e32 v[0:1], v7
	s_delay_alu instid0(VALU_DEP_1) | instskip(SKIP_3) | instid1(VALU_DEP_2)
	v_mul_f64_e32 v[0:1], v[2:3], v[0:1]
	s_wait_loadcnt 0x1
	v_subrev_nc_u32_e32 v2, s2, v6
	s_wait_loadcnt 0x0
	v_mul_f64_e32 v[0:1], v[4:5], v[0:1]
	global_atomic_add_f64 v2, v[0:1], s[0:1] scale_offset scope:SCOPE_DEV
.LBB93_5:
	s_endpgm
	.section	.rodata,"a",@progbits
	.p2align	6, 0x0
	.amdhsa_kernel _ZN9rocsparseL13coomvt_kernelILj1024EifdddEEv20rocsparse_operation_lNS_24const_host_device_scalarIT4_EEPKT0_S7_PKT1_PKT2_PT3_21rocsparse_index_base_b
		.amdhsa_group_segment_fixed_size 0
		.amdhsa_private_segment_fixed_size 0
		.amdhsa_kernarg_size 328
		.amdhsa_user_sgpr_count 2
		.amdhsa_user_sgpr_dispatch_ptr 0
		.amdhsa_user_sgpr_queue_ptr 0
		.amdhsa_user_sgpr_kernarg_segment_ptr 1
		.amdhsa_user_sgpr_dispatch_id 0
		.amdhsa_user_sgpr_kernarg_preload_length 0
		.amdhsa_user_sgpr_kernarg_preload_offset 0
		.amdhsa_user_sgpr_private_segment_size 0
		.amdhsa_wavefront_size32 1
		.amdhsa_uses_dynamic_stack 0
		.amdhsa_enable_private_segment 0
		.amdhsa_system_sgpr_workgroup_id_x 1
		.amdhsa_system_sgpr_workgroup_id_y 0
		.amdhsa_system_sgpr_workgroup_id_z 0
		.amdhsa_system_sgpr_workgroup_info 0
		.amdhsa_system_vgpr_workitem_id 0
		.amdhsa_next_free_vgpr 8
		.amdhsa_next_free_sgpr 12
		.amdhsa_named_barrier_count 0
		.amdhsa_reserve_vcc 1
		.amdhsa_float_round_mode_32 0
		.amdhsa_float_round_mode_16_64 0
		.amdhsa_float_denorm_mode_32 3
		.amdhsa_float_denorm_mode_16_64 3
		.amdhsa_fp16_overflow 0
		.amdhsa_memory_ordered 1
		.amdhsa_forward_progress 1
		.amdhsa_inst_pref_size 3
		.amdhsa_round_robin_scheduling 0
		.amdhsa_exception_fp_ieee_invalid_op 0
		.amdhsa_exception_fp_denorm_src 0
		.amdhsa_exception_fp_ieee_div_zero 0
		.amdhsa_exception_fp_ieee_overflow 0
		.amdhsa_exception_fp_ieee_underflow 0
		.amdhsa_exception_fp_ieee_inexact 0
		.amdhsa_exception_int_div_zero 0
	.end_amdhsa_kernel
	.section	.text._ZN9rocsparseL13coomvt_kernelILj1024EifdddEEv20rocsparse_operation_lNS_24const_host_device_scalarIT4_EEPKT0_S7_PKT1_PKT2_PT3_21rocsparse_index_base_b,"axG",@progbits,_ZN9rocsparseL13coomvt_kernelILj1024EifdddEEv20rocsparse_operation_lNS_24const_host_device_scalarIT4_EEPKT0_S7_PKT1_PKT2_PT3_21rocsparse_index_base_b,comdat
.Lfunc_end93:
	.size	_ZN9rocsparseL13coomvt_kernelILj1024EifdddEEv20rocsparse_operation_lNS_24const_host_device_scalarIT4_EEPKT0_S7_PKT1_PKT2_PT3_21rocsparse_index_base_b, .Lfunc_end93-_ZN9rocsparseL13coomvt_kernelILj1024EifdddEEv20rocsparse_operation_lNS_24const_host_device_scalarIT4_EEPKT0_S7_PKT1_PKT2_PT3_21rocsparse_index_base_b
                                        ; -- End function
	.set _ZN9rocsparseL13coomvt_kernelILj1024EifdddEEv20rocsparse_operation_lNS_24const_host_device_scalarIT4_EEPKT0_S7_PKT1_PKT2_PT3_21rocsparse_index_base_b.num_vgpr, 8
	.set _ZN9rocsparseL13coomvt_kernelILj1024EifdddEEv20rocsparse_operation_lNS_24const_host_device_scalarIT4_EEPKT0_S7_PKT1_PKT2_PT3_21rocsparse_index_base_b.num_agpr, 0
	.set _ZN9rocsparseL13coomvt_kernelILj1024EifdddEEv20rocsparse_operation_lNS_24const_host_device_scalarIT4_EEPKT0_S7_PKT1_PKT2_PT3_21rocsparse_index_base_b.numbered_sgpr, 12
	.set _ZN9rocsparseL13coomvt_kernelILj1024EifdddEEv20rocsparse_operation_lNS_24const_host_device_scalarIT4_EEPKT0_S7_PKT1_PKT2_PT3_21rocsparse_index_base_b.num_named_barrier, 0
	.set _ZN9rocsparseL13coomvt_kernelILj1024EifdddEEv20rocsparse_operation_lNS_24const_host_device_scalarIT4_EEPKT0_S7_PKT1_PKT2_PT3_21rocsparse_index_base_b.private_seg_size, 0
	.set _ZN9rocsparseL13coomvt_kernelILj1024EifdddEEv20rocsparse_operation_lNS_24const_host_device_scalarIT4_EEPKT0_S7_PKT1_PKT2_PT3_21rocsparse_index_base_b.uses_vcc, 1
	.set _ZN9rocsparseL13coomvt_kernelILj1024EifdddEEv20rocsparse_operation_lNS_24const_host_device_scalarIT4_EEPKT0_S7_PKT1_PKT2_PT3_21rocsparse_index_base_b.uses_flat_scratch, 0
	.set _ZN9rocsparseL13coomvt_kernelILj1024EifdddEEv20rocsparse_operation_lNS_24const_host_device_scalarIT4_EEPKT0_S7_PKT1_PKT2_PT3_21rocsparse_index_base_b.has_dyn_sized_stack, 0
	.set _ZN9rocsparseL13coomvt_kernelILj1024EifdddEEv20rocsparse_operation_lNS_24const_host_device_scalarIT4_EEPKT0_S7_PKT1_PKT2_PT3_21rocsparse_index_base_b.has_recursion, 0
	.set _ZN9rocsparseL13coomvt_kernelILj1024EifdddEEv20rocsparse_operation_lNS_24const_host_device_scalarIT4_EEPKT0_S7_PKT1_PKT2_PT3_21rocsparse_index_base_b.has_indirect_call, 0
	.section	.AMDGPU.csdata,"",@progbits
; Kernel info:
; codeLenInByte = 328
; TotalNumSgprs: 14
; NumVgprs: 8
; ScratchSize: 0
; MemoryBound: 0
; FloatMode: 240
; IeeeMode: 1
; LDSByteSize: 0 bytes/workgroup (compile time only)
; SGPRBlocks: 0
; VGPRBlocks: 0
; NumSGPRsForWavesPerEU: 14
; NumVGPRsForWavesPerEU: 8
; NamedBarCnt: 0
; Occupancy: 16
; WaveLimiterHint : 1
; COMPUTE_PGM_RSRC2:SCRATCH_EN: 0
; COMPUTE_PGM_RSRC2:USER_SGPR: 2
; COMPUTE_PGM_RSRC2:TRAP_HANDLER: 0
; COMPUTE_PGM_RSRC2:TGID_X_EN: 1
; COMPUTE_PGM_RSRC2:TGID_Y_EN: 0
; COMPUTE_PGM_RSRC2:TGID_Z_EN: 0
; COMPUTE_PGM_RSRC2:TIDIG_COMP_CNT: 0
	.section	.text._ZN9rocsparseL19coomvn_atomic_loopsILj256ELj1EifdddEEvlNS_24const_host_device_scalarIT5_EEPKT1_S6_PKT2_PKT3_PT4_21rocsparse_index_base_b,"axG",@progbits,_ZN9rocsparseL19coomvn_atomic_loopsILj256ELj1EifdddEEvlNS_24const_host_device_scalarIT5_EEPKT1_S6_PKT2_PKT3_PT4_21rocsparse_index_base_b,comdat
	.globl	_ZN9rocsparseL19coomvn_atomic_loopsILj256ELj1EifdddEEvlNS_24const_host_device_scalarIT5_EEPKT1_S6_PKT2_PKT3_PT4_21rocsparse_index_base_b ; -- Begin function _ZN9rocsparseL19coomvn_atomic_loopsILj256ELj1EifdddEEvlNS_24const_host_device_scalarIT5_EEPKT1_S6_PKT2_PKT3_PT4_21rocsparse_index_base_b
	.p2align	8
	.type	_ZN9rocsparseL19coomvn_atomic_loopsILj256ELj1EifdddEEvlNS_24const_host_device_scalarIT5_EEPKT1_S6_PKT2_PKT3_PT4_21rocsparse_index_base_b,@function
_ZN9rocsparseL19coomvn_atomic_loopsILj256ELj1EifdddEEvlNS_24const_host_device_scalarIT5_EEPKT1_S6_PKT2_PKT3_PT4_21rocsparse_index_base_b: ; @_ZN9rocsparseL19coomvn_atomic_loopsILj256ELj1EifdddEEvlNS_24const_host_device_scalarIT5_EEPKT1_S6_PKT2_PKT3_PT4_21rocsparse_index_base_b
; %bb.0:
	s_clause 0x1
	s_load_b64 s[2:3], s[0:1], 0x38
	s_load_b128 s[4:7], s[0:1], 0x0
	s_wait_kmcnt 0x0
	s_bitcmp1_b32 s3, 0
	v_mov_b64_e32 v[2:3], s[6:7]
	s_cselect_b32 s3, -1, 0
	s_delay_alu instid0(SALU_CYCLE_1)
	s_and_b32 vcc_lo, exec_lo, s3
	s_cbranch_vccnz .LBB94_2
; %bb.1:
	v_mov_b32_e32 v1, 0
	flat_load_b64 v[2:3], v1, s[6:7]
.LBB94_2:
	s_mov_b32 s3, exec_lo
	s_wait_loadcnt_dscnt 0x0
	s_delay_alu instid0(VALU_DEP_1)
	v_cmpx_neq_f64_e32 0, v[2:3]
	s_cbranch_execz .LBB94_42
; %bb.3:
	s_bfe_u32 s3, ttmp6, 0x4000c
	s_and_b32 s6, ttmp6, 15
	s_add_co_i32 s3, s3, 1
	s_getreg_b32 s7, hwreg(HW_REG_IB_STS2, 6, 4)
	s_mul_i32 s3, ttmp9, s3
	v_mov_b64_e32 v[4:5], 0
	s_add_co_i32 s6, s6, s3
	s_cmp_eq_u32 s7, 0
	v_dual_mov_b32 v7, 0 :: v_dual_mov_b32 v1, -1
	s_cselect_b32 s3, ttmp9, s6
	s_delay_alu instid0(SALU_CYCLE_1) | instskip(SKIP_1) | instid1(VALU_DEP_1)
	v_lshl_or_b32 v6, s3, 8, v0
	s_mov_b32 s3, exec_lo
	v_cmpx_gt_i64_e64 s[4:5], v[6:7]
	s_cbranch_execz .LBB94_5
; %bb.4:
	s_load_b256 s[4:11], s[0:1], 0x10
	v_lshlrev_b64_e32 v[4:5], 2, v[6:7]
	s_wait_kmcnt 0x0
	s_delay_alu instid0(VALU_DEP_1)
	v_add_nc_u64_e32 v[6:7], s[6:7], v[4:5]
	global_load_b32 v1, v[6:7], off th:TH_LOAD_NT
	s_wait_xcnt 0x0
	v_add_nc_u64_e32 v[6:7], s[8:9], v[4:5]
	v_add_nc_u64_e32 v[4:5], s[4:5], v[4:5]
	global_load_b32 v8, v[6:7], off th:TH_LOAD_NT
	s_wait_loadcnt 0x1
	v_subrev_nc_u32_e32 v1, s2, v1
	global_load_b64 v[6:7], v1, s[10:11] scale_offset
	global_load_b32 v1, v[4:5], off th:TH_LOAD_NT
	s_wait_loadcnt 0x2
	s_wait_xcnt 0x0
	v_cvt_f64_f32_e32 v[4:5], v8
	s_wait_loadcnt 0x1
	s_delay_alu instid0(VALU_DEP_1)
	v_mul_f64_e32 v[4:5], v[6:7], v[4:5]
	s_wait_loadcnt 0x0
	v_subrev_nc_u32_e32 v1, s2, v1
.LBB94_5:
	s_or_b32 exec_lo, exec_lo, s3
	v_dual_lshlrev_b32 v8, 2, v0 :: v_dual_lshlrev_b32 v7, 3, v0
	s_mov_b32 s2, exec_lo
	ds_store_b32 v8, v1 offset:2048
	ds_store_b64 v7, v[4:5]
	v_or_b32_e32 v6, 0x800, v8
	s_wait_dscnt 0x0
	s_barrier_signal -1
	s_barrier_wait -1
	v_cmpx_ne_u32_e32 0, v0
	s_cbranch_execz .LBB94_9
; %bb.6:
	v_add_nc_u32_e32 v8, -4, v6
	s_mov_b32 s3, exec_lo
	ds_load_b32 v8, v8
	s_wait_dscnt 0x0
	v_cmpx_eq_u32_e64 v1, v8
	s_cbranch_execz .LBB94_8
; %bb.7:
	v_add_nc_u32_e32 v8, -8, v7
	ds_load_b64 v[8:9], v8
	s_wait_dscnt 0x0
	v_add_f64_e32 v[4:5], v[4:5], v[8:9]
.LBB94_8:
	s_or_b32 exec_lo, exec_lo, s3
.LBB94_9:
	s_delay_alu instid0(SALU_CYCLE_1) | instskip(NEXT) | instid1(SALU_CYCLE_1)
	s_or_b32 exec_lo, exec_lo, s2
	s_mov_b32 s2, exec_lo
	s_barrier_signal -1
	s_barrier_wait -1
	ds_store_b64 v7, v[4:5]
	s_wait_dscnt 0x0
	s_barrier_signal -1
	s_barrier_wait -1
	v_cmpx_lt_u32_e32 1, v0
	s_cbranch_execz .LBB94_13
; %bb.10:
	v_add_nc_u32_e32 v8, -8, v6
	s_mov_b32 s3, exec_lo
	ds_load_b32 v8, v8
	s_wait_dscnt 0x0
	v_cmpx_eq_u32_e64 v1, v8
	s_cbranch_execz .LBB94_12
; %bb.11:
	v_add_nc_u32_e32 v8, -16, v7
	ds_load_b64 v[8:9], v8
	s_wait_dscnt 0x0
	v_add_f64_e32 v[4:5], v[4:5], v[8:9]
.LBB94_12:
	s_or_b32 exec_lo, exec_lo, s3
.LBB94_13:
	s_delay_alu instid0(SALU_CYCLE_1) | instskip(NEXT) | instid1(SALU_CYCLE_1)
	s_or_b32 exec_lo, exec_lo, s2
	s_mov_b32 s2, exec_lo
	s_barrier_signal -1
	s_barrier_wait -1
	ds_store_b64 v7, v[4:5]
	s_wait_dscnt 0x0
	s_barrier_signal -1
	s_barrier_wait -1
	v_cmpx_lt_u32_e32 3, v0
	s_cbranch_execz .LBB94_17
; %bb.14:
	v_add_nc_u32_e32 v8, -16, v6
	s_mov_b32 s3, exec_lo
	ds_load_b32 v8, v8
	s_wait_dscnt 0x0
	v_cmpx_eq_u32_e64 v1, v8
	s_cbranch_execz .LBB94_16
; %bb.15:
	v_subrev_nc_u32_e32 v8, 32, v7
	ds_load_b64 v[8:9], v8
	s_wait_dscnt 0x0
	v_add_f64_e32 v[4:5], v[4:5], v[8:9]
.LBB94_16:
	s_or_b32 exec_lo, exec_lo, s3
.LBB94_17:
	s_delay_alu instid0(SALU_CYCLE_1) | instskip(NEXT) | instid1(SALU_CYCLE_1)
	s_or_b32 exec_lo, exec_lo, s2
	s_mov_b32 s2, exec_lo
	s_barrier_signal -1
	s_barrier_wait -1
	ds_store_b64 v7, v[4:5]
	s_wait_dscnt 0x0
	s_barrier_signal -1
	s_barrier_wait -1
	v_cmpx_lt_u32_e32 7, v0
	s_cbranch_execz .LBB94_21
; %bb.18:
	v_subrev_nc_u32_e32 v8, 32, v6
	s_mov_b32 s3, exec_lo
	ds_load_b32 v8, v8
	s_wait_dscnt 0x0
	v_cmpx_eq_u32_e64 v1, v8
	s_cbranch_execz .LBB94_20
; %bb.19:
	v_subrev_nc_u32_e32 v8, 64, v7
	ds_load_b64 v[8:9], v8
	s_wait_dscnt 0x0
	v_add_f64_e32 v[4:5], v[4:5], v[8:9]
.LBB94_20:
	s_or_b32 exec_lo, exec_lo, s3
.LBB94_21:
	s_delay_alu instid0(SALU_CYCLE_1) | instskip(NEXT) | instid1(SALU_CYCLE_1)
	s_or_b32 exec_lo, exec_lo, s2
	s_mov_b32 s2, exec_lo
	s_barrier_signal -1
	s_barrier_wait -1
	ds_store_b64 v7, v[4:5]
	s_wait_dscnt 0x0
	s_barrier_signal -1
	s_barrier_wait -1
	v_cmpx_lt_u32_e32 15, v0
	s_cbranch_execz .LBB94_25
; %bb.22:
	v_subrev_nc_u32_e32 v8, 64, v6
	s_mov_b32 s3, exec_lo
	ds_load_b32 v8, v8
	s_wait_dscnt 0x0
	v_cmpx_eq_u32_e64 v1, v8
	s_cbranch_execz .LBB94_24
; %bb.23:
	v_add_nc_u32_e32 v8, 0xffffff80, v7
	ds_load_b64 v[8:9], v8
	s_wait_dscnt 0x0
	v_add_f64_e32 v[4:5], v[4:5], v[8:9]
.LBB94_24:
	s_or_b32 exec_lo, exec_lo, s3
.LBB94_25:
	s_delay_alu instid0(SALU_CYCLE_1) | instskip(NEXT) | instid1(SALU_CYCLE_1)
	s_or_b32 exec_lo, exec_lo, s2
	s_mov_b32 s2, exec_lo
	s_barrier_signal -1
	s_barrier_wait -1
	ds_store_b64 v7, v[4:5]
	s_wait_dscnt 0x0
	s_barrier_signal -1
	s_barrier_wait -1
	v_cmpx_lt_u32_e32 31, v0
	s_cbranch_execz .LBB94_29
; %bb.26:
	v_add_nc_u32_e32 v8, 0xffffff80, v6
	s_mov_b32 s3, exec_lo
	ds_load_b32 v8, v8
	s_wait_dscnt 0x0
	v_cmpx_eq_u32_e64 v1, v8
	s_cbranch_execz .LBB94_28
; %bb.27:
	v_add_nc_u32_e32 v8, 0xffffff00, v7
	ds_load_b64 v[8:9], v8
	s_wait_dscnt 0x0
	v_add_f64_e32 v[4:5], v[4:5], v[8:9]
.LBB94_28:
	s_or_b32 exec_lo, exec_lo, s3
.LBB94_29:
	s_delay_alu instid0(SALU_CYCLE_1) | instskip(NEXT) | instid1(SALU_CYCLE_1)
	s_or_b32 exec_lo, exec_lo, s2
	s_mov_b32 s2, exec_lo
	s_barrier_signal -1
	s_barrier_wait -1
	ds_store_b64 v7, v[4:5]
	s_wait_dscnt 0x0
	s_barrier_signal -1
	s_barrier_wait -1
	v_cmpx_lt_u32_e32 63, v0
	s_cbranch_execz .LBB94_33
; %bb.30:
	v_add_nc_u32_e32 v8, 0xffffff00, v6
	s_mov_b32 s3, exec_lo
	ds_load_b32 v8, v8
	s_wait_dscnt 0x0
	v_cmpx_eq_u32_e64 v1, v8
	s_cbranch_execz .LBB94_32
; %bb.31:
	v_add_nc_u32_e32 v8, 0xfffffe00, v7
	ds_load_b64 v[8:9], v8
	s_wait_dscnt 0x0
	v_add_f64_e32 v[4:5], v[4:5], v[8:9]
.LBB94_32:
	s_or_b32 exec_lo, exec_lo, s3
.LBB94_33:
	s_delay_alu instid0(SALU_CYCLE_1)
	s_or_b32 exec_lo, exec_lo, s2
	s_load_b64 s[2:3], s[0:1], 0x30
	s_wait_xcnt 0x0
	s_mov_b32 s0, exec_lo
	s_barrier_signal -1
	s_barrier_wait -1
	ds_store_b64 v7, v[4:5]
	s_wait_dscnt 0x0
	s_barrier_signal -1
	s_barrier_wait -1
	v_cmpx_lt_u32_e32 0x7f, v0
	s_cbranch_execz .LBB94_37
; %bb.34:
	v_add_nc_u32_e32 v8, 0xfffffe00, v6
	s_mov_b32 s1, exec_lo
	ds_load_b32 v8, v8
	s_wait_dscnt 0x0
	v_cmpx_eq_u32_e64 v1, v8
	s_cbranch_execz .LBB94_36
; %bb.35:
	v_add_nc_u32_e32 v8, 0xfffffc00, v7
	ds_load_b64 v[8:9], v8
	s_wait_dscnt 0x0
	v_add_f64_e32 v[4:5], v[4:5], v[8:9]
.LBB94_36:
	s_or_b32 exec_lo, exec_lo, s1
.LBB94_37:
	s_delay_alu instid0(SALU_CYCLE_1) | instskip(NEXT) | instid1(SALU_CYCLE_1)
	s_or_b32 exec_lo, exec_lo, s0
	s_mov_b32 s1, exec_lo
	s_barrier_signal -1
	s_barrier_wait -1
	ds_store_b64 v7, v[4:5]
	s_wait_dscnt 0x0
	s_barrier_signal -1
	s_barrier_wait -1
	v_cmpx_gt_u32_e32 0xff, v0
	s_cbranch_execz .LBB94_40
; %bb.38:
	ds_load_b32 v6, v6 offset:4
	v_cmp_lt_i32_e64 s0, -1, v1
	s_wait_dscnt 0x0
	v_cmp_ne_u32_e32 vcc_lo, v1, v6
	s_and_b32 s0, s0, vcc_lo
	s_delay_alu instid0(SALU_CYCLE_1)
	s_and_b32 exec_lo, exec_lo, s0
	s_cbranch_execz .LBB94_40
; %bb.39:
	v_mul_f64_e32 v[6:7], v[2:3], v[4:5]
	s_wait_kmcnt 0x0
	global_atomic_add_f64 v1, v[6:7], s[2:3] scale_offset scope:SCOPE_DEV
.LBB94_40:
	s_wait_xcnt 0x0
	s_or_b32 exec_lo, exec_lo, s1
	v_cmp_eq_u32_e32 vcc_lo, 0xff, v0
	v_cmp_lt_i32_e64 s0, -1, v1
	s_and_b32 s0, vcc_lo, s0
	s_delay_alu instid0(SALU_CYCLE_1)
	s_and_b32 exec_lo, exec_lo, s0
	s_cbranch_execz .LBB94_42
; %bb.41:
	v_mul_f64_e32 v[2:3], v[2:3], v[4:5]
	s_wait_kmcnt 0x0
	global_atomic_add_f64 v1, v[2:3], s[2:3] scale_offset scope:SCOPE_DEV
.LBB94_42:
	s_endpgm
	.section	.rodata,"a",@progbits
	.p2align	6, 0x0
	.amdhsa_kernel _ZN9rocsparseL19coomvn_atomic_loopsILj256ELj1EifdddEEvlNS_24const_host_device_scalarIT5_EEPKT1_S6_PKT2_PKT3_PT4_21rocsparse_index_base_b
		.amdhsa_group_segment_fixed_size 3072
		.amdhsa_private_segment_fixed_size 0
		.amdhsa_kernarg_size 64
		.amdhsa_user_sgpr_count 2
		.amdhsa_user_sgpr_dispatch_ptr 0
		.amdhsa_user_sgpr_queue_ptr 0
		.amdhsa_user_sgpr_kernarg_segment_ptr 1
		.amdhsa_user_sgpr_dispatch_id 0
		.amdhsa_user_sgpr_kernarg_preload_length 0
		.amdhsa_user_sgpr_kernarg_preload_offset 0
		.amdhsa_user_sgpr_private_segment_size 0
		.amdhsa_wavefront_size32 1
		.amdhsa_uses_dynamic_stack 0
		.amdhsa_enable_private_segment 0
		.amdhsa_system_sgpr_workgroup_id_x 1
		.amdhsa_system_sgpr_workgroup_id_y 0
		.amdhsa_system_sgpr_workgroup_id_z 0
		.amdhsa_system_sgpr_workgroup_info 0
		.amdhsa_system_vgpr_workitem_id 0
		.amdhsa_next_free_vgpr 10
		.amdhsa_next_free_sgpr 12
		.amdhsa_named_barrier_count 0
		.amdhsa_reserve_vcc 1
		.amdhsa_float_round_mode_32 0
		.amdhsa_float_round_mode_16_64 0
		.amdhsa_float_denorm_mode_32 3
		.amdhsa_float_denorm_mode_16_64 3
		.amdhsa_fp16_overflow 0
		.amdhsa_memory_ordered 1
		.amdhsa_forward_progress 1
		.amdhsa_inst_pref_size 11
		.amdhsa_round_robin_scheduling 0
		.amdhsa_exception_fp_ieee_invalid_op 0
		.amdhsa_exception_fp_denorm_src 0
		.amdhsa_exception_fp_ieee_div_zero 0
		.amdhsa_exception_fp_ieee_overflow 0
		.amdhsa_exception_fp_ieee_underflow 0
		.amdhsa_exception_fp_ieee_inexact 0
		.amdhsa_exception_int_div_zero 0
	.end_amdhsa_kernel
	.section	.text._ZN9rocsparseL19coomvn_atomic_loopsILj256ELj1EifdddEEvlNS_24const_host_device_scalarIT5_EEPKT1_S6_PKT2_PKT3_PT4_21rocsparse_index_base_b,"axG",@progbits,_ZN9rocsparseL19coomvn_atomic_loopsILj256ELj1EifdddEEvlNS_24const_host_device_scalarIT5_EEPKT1_S6_PKT2_PKT3_PT4_21rocsparse_index_base_b,comdat
.Lfunc_end94:
	.size	_ZN9rocsparseL19coomvn_atomic_loopsILj256ELj1EifdddEEvlNS_24const_host_device_scalarIT5_EEPKT1_S6_PKT2_PKT3_PT4_21rocsparse_index_base_b, .Lfunc_end94-_ZN9rocsparseL19coomvn_atomic_loopsILj256ELj1EifdddEEvlNS_24const_host_device_scalarIT5_EEPKT1_S6_PKT2_PKT3_PT4_21rocsparse_index_base_b
                                        ; -- End function
	.set _ZN9rocsparseL19coomvn_atomic_loopsILj256ELj1EifdddEEvlNS_24const_host_device_scalarIT5_EEPKT1_S6_PKT2_PKT3_PT4_21rocsparse_index_base_b.num_vgpr, 10
	.set _ZN9rocsparseL19coomvn_atomic_loopsILj256ELj1EifdddEEvlNS_24const_host_device_scalarIT5_EEPKT1_S6_PKT2_PKT3_PT4_21rocsparse_index_base_b.num_agpr, 0
	.set _ZN9rocsparseL19coomvn_atomic_loopsILj256ELj1EifdddEEvlNS_24const_host_device_scalarIT5_EEPKT1_S6_PKT2_PKT3_PT4_21rocsparse_index_base_b.numbered_sgpr, 12
	.set _ZN9rocsparseL19coomvn_atomic_loopsILj256ELj1EifdddEEvlNS_24const_host_device_scalarIT5_EEPKT1_S6_PKT2_PKT3_PT4_21rocsparse_index_base_b.num_named_barrier, 0
	.set _ZN9rocsparseL19coomvn_atomic_loopsILj256ELj1EifdddEEvlNS_24const_host_device_scalarIT5_EEPKT1_S6_PKT2_PKT3_PT4_21rocsparse_index_base_b.private_seg_size, 0
	.set _ZN9rocsparseL19coomvn_atomic_loopsILj256ELj1EifdddEEvlNS_24const_host_device_scalarIT5_EEPKT1_S6_PKT2_PKT3_PT4_21rocsparse_index_base_b.uses_vcc, 1
	.set _ZN9rocsparseL19coomvn_atomic_loopsILj256ELj1EifdddEEvlNS_24const_host_device_scalarIT5_EEPKT1_S6_PKT2_PKT3_PT4_21rocsparse_index_base_b.uses_flat_scratch, 0
	.set _ZN9rocsparseL19coomvn_atomic_loopsILj256ELj1EifdddEEvlNS_24const_host_device_scalarIT5_EEPKT1_S6_PKT2_PKT3_PT4_21rocsparse_index_base_b.has_dyn_sized_stack, 0
	.set _ZN9rocsparseL19coomvn_atomic_loopsILj256ELj1EifdddEEvlNS_24const_host_device_scalarIT5_EEPKT1_S6_PKT2_PKT3_PT4_21rocsparse_index_base_b.has_recursion, 0
	.set _ZN9rocsparseL19coomvn_atomic_loopsILj256ELj1EifdddEEvlNS_24const_host_device_scalarIT5_EEPKT1_S6_PKT2_PKT3_PT4_21rocsparse_index_base_b.has_indirect_call, 0
	.section	.AMDGPU.csdata,"",@progbits
; Kernel info:
; codeLenInByte = 1356
; TotalNumSgprs: 14
; NumVgprs: 10
; ScratchSize: 0
; MemoryBound: 0
; FloatMode: 240
; IeeeMode: 1
; LDSByteSize: 3072 bytes/workgroup (compile time only)
; SGPRBlocks: 0
; VGPRBlocks: 0
; NumSGPRsForWavesPerEU: 14
; NumVGPRsForWavesPerEU: 10
; NamedBarCnt: 0
; Occupancy: 16
; WaveLimiterHint : 1
; COMPUTE_PGM_RSRC2:SCRATCH_EN: 0
; COMPUTE_PGM_RSRC2:USER_SGPR: 2
; COMPUTE_PGM_RSRC2:TRAP_HANDLER: 0
; COMPUTE_PGM_RSRC2:TGID_X_EN: 1
; COMPUTE_PGM_RSRC2:TGID_Y_EN: 0
; COMPUTE_PGM_RSRC2:TGID_Z_EN: 0
; COMPUTE_PGM_RSRC2:TIDIG_COMP_CNT: 0
	.section	.text._ZN9rocsparseL19coomvn_atomic_loopsILj256ELj2EifdddEEvlNS_24const_host_device_scalarIT5_EEPKT1_S6_PKT2_PKT3_PT4_21rocsparse_index_base_b,"axG",@progbits,_ZN9rocsparseL19coomvn_atomic_loopsILj256ELj2EifdddEEvlNS_24const_host_device_scalarIT5_EEPKT1_S6_PKT2_PKT3_PT4_21rocsparse_index_base_b,comdat
	.globl	_ZN9rocsparseL19coomvn_atomic_loopsILj256ELj2EifdddEEvlNS_24const_host_device_scalarIT5_EEPKT1_S6_PKT2_PKT3_PT4_21rocsparse_index_base_b ; -- Begin function _ZN9rocsparseL19coomvn_atomic_loopsILj256ELj2EifdddEEvlNS_24const_host_device_scalarIT5_EEPKT1_S6_PKT2_PKT3_PT4_21rocsparse_index_base_b
	.p2align	8
	.type	_ZN9rocsparseL19coomvn_atomic_loopsILj256ELj2EifdddEEvlNS_24const_host_device_scalarIT5_EEPKT1_S6_PKT2_PKT3_PT4_21rocsparse_index_base_b,@function
_ZN9rocsparseL19coomvn_atomic_loopsILj256ELj2EifdddEEvlNS_24const_host_device_scalarIT5_EEPKT1_S6_PKT2_PKT3_PT4_21rocsparse_index_base_b: ; @_ZN9rocsparseL19coomvn_atomic_loopsILj256ELj2EifdddEEvlNS_24const_host_device_scalarIT5_EEPKT1_S6_PKT2_PKT3_PT4_21rocsparse_index_base_b
; %bb.0:
	s_clause 0x1
	s_load_b64 s[24:25], s[0:1], 0x38
	s_load_b128 s[20:23], s[0:1], 0x0
	s_wait_kmcnt 0x0
	s_bitcmp1_b32 s25, 0
	v_mov_b64_e32 v[2:3], s[22:23]
	s_cselect_b32 s2, -1, 0
	s_delay_alu instid0(SALU_CYCLE_1)
	s_and_b32 vcc_lo, exec_lo, s2
	s_cbranch_vccnz .LBB95_2
; %bb.1:
	v_mov_b32_e32 v1, 0
	flat_load_b64 v[2:3], v1, s[22:23]
.LBB95_2:
	s_mov_b32 s2, exec_lo
	s_wait_loadcnt_dscnt 0x0
	s_delay_alu instid0(VALU_DEP_1)
	v_cmpx_neq_f64_e32 0, v[2:3]
	s_cbranch_execz .LBB95_90
; %bb.3:
	s_bfe_u32 s2, ttmp6, 0x4000c
	s_load_b256 s[12:19], s[0:1], 0x10
	s_add_co_i32 s2, s2, 1
	s_and_b32 s3, ttmp6, 15
	s_mul_i32 s2, ttmp9, s2
	s_getreg_b32 s4, hwreg(HW_REG_IB_STS2, 6, 4)
	s_add_co_i32 s3, s3, s2
	s_cmp_eq_u32 s4, 0
	v_dual_mov_b32 v7, 0 :: v_dual_mov_b32 v19, -1
	s_cselect_b32 s2, ttmp9, s3
	v_mov_b64_e32 v[8:9], 0
	v_lshl_or_b32 v6, s2, 9, v0
	s_mov_b32 s2, exec_lo
	s_delay_alu instid0(VALU_DEP_1)
	v_lshlrev_b64_e32 v[4:5], 2, v[6:7]
	v_cmpx_gt_i64_e64 s[20:21], v[6:7]
	s_cbranch_execz .LBB95_5
; %bb.4:
	s_wait_kmcnt 0x0
	s_delay_alu instid0(VALU_DEP_2)
	v_add_nc_u64_e32 v[8:9], s[14:15], v[4:5]
	v_add_nc_u64_e32 v[10:11], s[12:13], v[4:5]
	global_load_b32 v1, v[8:9], off th:TH_LOAD_NT
	s_wait_xcnt 0x0
	v_add_nc_u64_e32 v[8:9], s[16:17], v[4:5]
	global_load_b32 v12, v[8:9], off th:TH_LOAD_NT
	s_wait_loadcnt 0x1
	v_subrev_nc_u32_e32 v1, s24, v1
	global_load_b64 v[8:9], v1, s[18:19] scale_offset
	global_load_b32 v1, v[10:11], off th:TH_LOAD_NT
	s_wait_loadcnt 0x2
	s_wait_xcnt 0x0
	v_cvt_f64_f32_e32 v[10:11], v12
	s_wait_loadcnt 0x1
	s_delay_alu instid0(VALU_DEP_1)
	v_mul_f64_e32 v[8:9], v[8:9], v[10:11]
	s_wait_loadcnt 0x0
	v_subrev_nc_u32_e32 v19, s24, v1
.LBB95_5:
	s_or_b32 exec_lo, exec_lo, s2
	v_dual_lshlrev_b32 v11, 2, v0 :: v_dual_lshlrev_b32 v10, 3, v0
	v_cmp_ne_u32_e64 s2, 0, v0
	v_cmp_eq_u32_e32 vcc_lo, 0, v0
	ds_store_b32 v11, v19 offset:2048
	ds_store_b64 v10, v[8:9]
	v_or_b32_e32 v1, 0x800, v11
	s_wait_dscnt 0x0
	s_barrier_signal -1
	s_barrier_wait -1
	s_delay_alu instid0(VALU_DEP_1)
	v_add_nc_u32_e32 v11, -4, v1
	s_and_saveexec_b32 s4, s2
	s_cbranch_execz .LBB95_9
; %bb.6:
	ds_load_b32 v12, v11
	s_mov_b32 s5, exec_lo
	s_wait_dscnt 0x0
	v_cmpx_eq_u32_e64 v19, v12
	s_cbranch_execz .LBB95_8
; %bb.7:
	v_add_nc_u32_e32 v12, -8, v10
	ds_load_b64 v[12:13], v12
	s_wait_dscnt 0x0
	v_add_f64_e32 v[8:9], v[8:9], v[12:13]
.LBB95_8:
	s_or_b32 exec_lo, exec_lo, s5
.LBB95_9:
	s_delay_alu instid0(SALU_CYCLE_1)
	s_or_b32 exec_lo, exec_lo, s4
	v_cmp_lt_u32_e64 s3, 1, v0
	v_add_nc_u32_e32 v12, -8, v1
	s_barrier_signal -1
	s_barrier_wait -1
	ds_store_b64 v10, v[8:9]
	s_wait_dscnt 0x0
	s_barrier_signal -1
	s_barrier_wait -1
	s_and_saveexec_b32 s5, s3
	s_cbranch_execz .LBB95_13
; %bb.10:
	ds_load_b32 v13, v12
	s_mov_b32 s6, exec_lo
	s_wait_dscnt 0x0
	v_cmpx_eq_u32_e64 v19, v13
	s_cbranch_execz .LBB95_12
; %bb.11:
	v_add_nc_u32_e32 v13, -16, v10
	ds_load_b64 v[14:15], v13
	s_wait_dscnt 0x0
	v_add_f64_e32 v[8:9], v[8:9], v[14:15]
.LBB95_12:
	s_or_b32 exec_lo, exec_lo, s6
.LBB95_13:
	s_delay_alu instid0(SALU_CYCLE_1)
	s_or_b32 exec_lo, exec_lo, s5
	v_cmp_lt_u32_e64 s4, 3, v0
	v_add_nc_u32_e32 v13, -16, v1
	s_barrier_signal -1
	s_barrier_wait -1
	ds_store_b64 v10, v[8:9]
	s_wait_dscnt 0x0
	s_barrier_signal -1
	s_barrier_wait -1
	s_and_saveexec_b32 s6, s4
	s_cbranch_execz .LBB95_17
; %bb.14:
	ds_load_b32 v14, v13
	s_mov_b32 s7, exec_lo
	s_wait_dscnt 0x0
	v_cmpx_eq_u32_e64 v19, v14
	s_cbranch_execz .LBB95_16
; %bb.15:
	v_subrev_nc_u32_e32 v14, 32, v10
	ds_load_b64 v[14:15], v14
	s_wait_dscnt 0x0
	v_add_f64_e32 v[8:9], v[8:9], v[14:15]
.LBB95_16:
	s_or_b32 exec_lo, exec_lo, s7
.LBB95_17:
	s_delay_alu instid0(SALU_CYCLE_1)
	s_or_b32 exec_lo, exec_lo, s6
	v_cmp_lt_u32_e64 s5, 7, v0
	v_subrev_nc_u32_e32 v14, 32, v1
	s_barrier_signal -1
	s_barrier_wait -1
	ds_store_b64 v10, v[8:9]
	s_wait_dscnt 0x0
	s_barrier_signal -1
	s_barrier_wait -1
	s_and_saveexec_b32 s7, s5
	s_cbranch_execz .LBB95_21
; %bb.18:
	ds_load_b32 v15, v14
	s_mov_b32 s8, exec_lo
	s_wait_dscnt 0x0
	v_cmpx_eq_u32_e64 v19, v15
	s_cbranch_execz .LBB95_20
; %bb.19:
	v_subrev_nc_u32_e32 v15, 64, v10
	ds_load_b64 v[16:17], v15
	s_wait_dscnt 0x0
	v_add_f64_e32 v[8:9], v[8:9], v[16:17]
.LBB95_20:
	s_or_b32 exec_lo, exec_lo, s8
.LBB95_21:
	s_delay_alu instid0(SALU_CYCLE_1)
	s_or_b32 exec_lo, exec_lo, s7
	v_cmp_lt_u32_e64 s6, 15, v0
	v_subrev_nc_u32_e32 v15, 64, v1
	s_barrier_signal -1
	s_barrier_wait -1
	ds_store_b64 v10, v[8:9]
	s_wait_dscnt 0x0
	s_barrier_signal -1
	s_barrier_wait -1
	s_and_saveexec_b32 s8, s6
	s_cbranch_execz .LBB95_25
; %bb.22:
	ds_load_b32 v16, v15
	s_mov_b32 s9, exec_lo
	s_wait_dscnt 0x0
	v_cmpx_eq_u32_e64 v19, v16
	s_cbranch_execz .LBB95_24
; %bb.23:
	v_add_nc_u32_e32 v16, 0xffffff80, v10
	ds_load_b64 v[16:17], v16
	s_wait_dscnt 0x0
	v_add_f64_e32 v[8:9], v[8:9], v[16:17]
.LBB95_24:
	s_or_b32 exec_lo, exec_lo, s9
.LBB95_25:
	s_delay_alu instid0(SALU_CYCLE_1)
	s_or_b32 exec_lo, exec_lo, s8
	v_cmp_lt_u32_e64 s7, 31, v0
	v_add_nc_u32_e32 v16, 0xffffff80, v1
	s_barrier_signal -1
	s_barrier_wait -1
	ds_store_b64 v10, v[8:9]
	s_wait_dscnt 0x0
	s_barrier_signal -1
	s_barrier_wait -1
	s_and_saveexec_b32 s9, s7
	s_cbranch_execz .LBB95_29
; %bb.26:
	ds_load_b32 v17, v16
	s_mov_b32 s10, exec_lo
	s_wait_dscnt 0x0
	v_cmpx_eq_u32_e64 v19, v17
	s_cbranch_execz .LBB95_28
; %bb.27:
	v_add_nc_u32_e32 v17, 0xffffff00, v10
	ds_load_b64 v[20:21], v17
	s_wait_dscnt 0x0
	v_add_f64_e32 v[8:9], v[8:9], v[20:21]
.LBB95_28:
	s_or_b32 exec_lo, exec_lo, s10
.LBB95_29:
	s_delay_alu instid0(SALU_CYCLE_1)
	s_or_b32 exec_lo, exec_lo, s9
	v_cmp_lt_u32_e64 s8, 63, v0
	v_add_nc_u32_e32 v17, 0xffffff00, v1
	s_barrier_signal -1
	s_barrier_wait -1
	ds_store_b64 v10, v[8:9]
	s_wait_dscnt 0x0
	s_barrier_signal -1
	s_barrier_wait -1
	s_and_saveexec_b32 s10, s8
	s_cbranch_execz .LBB95_33
; %bb.30:
	ds_load_b32 v18, v17
	s_mov_b32 s11, exec_lo
	s_wait_dscnt 0x0
	v_cmpx_eq_u32_e64 v19, v18
	s_cbranch_execz .LBB95_32
; %bb.31:
	v_add_nc_u32_e32 v18, 0xfffffe00, v10
	ds_load_b64 v[20:21], v18
	s_wait_dscnt 0x0
	v_add_f64_e32 v[8:9], v[8:9], v[20:21]
.LBB95_32:
	s_or_b32 exec_lo, exec_lo, s11
.LBB95_33:
	s_delay_alu instid0(SALU_CYCLE_1)
	s_or_b32 exec_lo, exec_lo, s10
	s_load_b64 s[22:23], s[0:1], 0x30
	s_wait_xcnt 0x0
	v_cmp_lt_u32_e64 s0, 0x7f, v0
	v_add_nc_u32_e32 v18, 0xfffffe00, v1
	s_barrier_signal -1
	s_barrier_wait -1
	ds_store_b64 v10, v[8:9]
	s_wait_dscnt 0x0
	s_barrier_signal -1
	s_barrier_wait -1
	s_and_saveexec_b32 s9, s0
	s_cbranch_execz .LBB95_37
; %bb.34:
	ds_load_b32 v20, v18
	s_mov_b32 s10, exec_lo
	s_wait_dscnt 0x0
	v_cmpx_eq_u32_e64 v19, v20
	s_cbranch_execz .LBB95_36
; %bb.35:
	v_add_nc_u32_e32 v20, 0xfffffc00, v10
	ds_load_b64 v[20:21], v20
	s_wait_dscnt 0x0
	v_add_f64_e32 v[8:9], v[8:9], v[20:21]
.LBB95_36:
	s_or_b32 exec_lo, exec_lo, s10
.LBB95_37:
	s_delay_alu instid0(SALU_CYCLE_1)
	s_or_b32 exec_lo, exec_lo, s9
	v_cmp_gt_u32_e64 s1, 0xff, v0
	s_barrier_signal -1
	s_barrier_wait -1
	ds_store_b64 v10, v[8:9]
	s_wait_dscnt 0x0
	s_barrier_signal -1
	s_barrier_wait -1
	s_and_saveexec_b32 s11, s1
	s_cbranch_execz .LBB95_40
; %bb.38:
	ds_load_b32 v20, v1 offset:4
	v_cmp_lt_i32_e64 s10, -1, v19
	s_wait_dscnt 0x0
	v_cmp_ne_u32_e64 s9, v19, v20
	s_and_b32 s9, s10, s9
	s_delay_alu instid0(SALU_CYCLE_1)
	s_and_b32 exec_lo, exec_lo, s9
	s_cbranch_execz .LBB95_40
; %bb.39:
	v_mul_f64_e32 v[8:9], v[2:3], v[8:9]
	s_wait_kmcnt 0x0
	global_atomic_add_f64 v19, v[8:9], s[22:23] scale_offset scope:SCOPE_DEV
.LBB95_40:
	s_wait_xcnt 0x0
	s_or_b32 exec_lo, exec_lo, s11
	v_add_nc_u64_e32 v[6:7], 0x100, v[6:7]
	v_mov_b32_e32 v19, -1
	s_delay_alu instid0(VALU_DEP_2)
	v_cmp_gt_i64_e64 s9, s[20:21], v[6:7]
	v_mov_b64_e32 v[6:7], 0
	s_and_saveexec_b32 s10, s9
	s_cbranch_execz .LBB95_42
; %bb.41:
	s_wait_kmcnt 0x0
	v_add_nc_u64_e32 v[6:7], s[14:15], v[4:5]
	global_load_b32 v8, v[6:7], off offset:1024 th:TH_LOAD_NT
	s_wait_xcnt 0x0
	v_add_nc_u64_e32 v[6:7], s[16:17], v[4:5]
	v_add_nc_u64_e32 v[4:5], s[12:13], v[4:5]
	global_load_b32 v9, v[6:7], off offset:1024 th:TH_LOAD_NT
	s_wait_loadcnt 0x1
	s_wait_xcnt 0x0
	v_subrev_nc_u32_e32 v6, s24, v8
	global_load_b32 v8, v[4:5], off offset:1024 th:TH_LOAD_NT
	global_load_b64 v[6:7], v6, s[18:19] scale_offset
	s_wait_loadcnt 0x2
	s_wait_xcnt 0x1
	v_cvt_f64_f32_e32 v[4:5], v9
	s_wait_loadcnt 0x1
	v_subrev_nc_u32_e32 v19, s24, v8
	s_wait_loadcnt 0x0
	s_delay_alu instid0(VALU_DEP_2)
	v_mul_f64_e32 v[6:7], v[6:7], v[4:5]
.LBB95_42:
	s_or_b32 exec_lo, exec_lo, s10
	s_and_saveexec_b32 s9, vcc_lo
	s_cbranch_execz .LBB95_53
; %bb.43:
	v_mov_b32_e32 v4, 0
	s_mov_b32 s10, exec_lo
	ds_load_b32 v20, v4 offset:3068
	s_wait_dscnt 0x0
	v_cmpx_ne_u32_e64 v19, v20
	s_xor_b32 s10, exec_lo, s10
	s_cbranch_execz .LBB95_50
; %bb.44:
	v_cmp_gt_i32_e32 vcc_lo, 0, v20
	s_cbranch_vccnz .LBB95_50
; %bb.45:
	v_mov_b32_e32 v4, 0
	s_mov_b32 s11, exec_lo
	ds_load_b64 v[4:5], v4 offset:2040
	s_wait_dscnt 0x0
	v_mul_f64_e32 v[8:9], v[2:3], v[4:5]
	v_mov_b64_e32 v[4:5], 0x8000000000000000
.LBB95_46:                              ; =>This Inner Loop Header: Depth=1
	s_wait_kmcnt 0x0
	s_ctz_i32_b32 s14, s11
	s_delay_alu instid0(VALU_DEP_2) | instid1(SALU_CYCLE_1)
	v_readlane_b32 s13, v9, s14
	s_delay_alu instid0(VALU_DEP_3) | instskip(NEXT) | instid1(VALU_DEP_1)
	v_readlane_b32 s12, v8, s14
	v_add_f64_e32 v[4:5], s[12:13], v[4:5]
	s_lshl_b32 s12, 1, s14
	s_delay_alu instid0(SALU_CYCLE_1) | instskip(NEXT) | instid1(SALU_CYCLE_1)
	s_and_not1_b32 s11, s11, s12
	s_cmp_lg_u32 s11, 0
	s_cbranch_scc1 .LBB95_46
; %bb.47:
	v_mbcnt_lo_u32_b32 v8, exec_lo, 0
	s_mov_b32 s11, exec_lo
	s_delay_alu instid0(VALU_DEP_1)
	v_cmpx_eq_u32_e32 0, v8
	s_xor_b32 s11, exec_lo, s11
	s_cbranch_execz .LBB95_49
; %bb.48:
	global_atomic_add_f64 v20, v[4:5], s[22:23] scale_offset scope:SCOPE_DEV
.LBB95_49:
	s_wait_xcnt 0x0
	s_or_b32 exec_lo, exec_lo, s11
.LBB95_50:
	s_and_not1_saveexec_b32 s10, s10
	s_cbranch_execz .LBB95_52
; %bb.51:
	v_mov_b32_e32 v4, 0
	ds_load_b64 v[4:5], v4 offset:2040
	s_wait_dscnt 0x0
	v_add_f64_e32 v[6:7], v[6:7], v[4:5]
.LBB95_52:
	s_or_b32 exec_lo, exec_lo, s10
.LBB95_53:
	s_delay_alu instid0(SALU_CYCLE_1)
	s_or_b32 exec_lo, exec_lo, s9
	s_wait_storecnt 0x0
	s_barrier_signal -1
	s_barrier_wait -1
	ds_store_b32 v1, v19
	ds_store_b64 v10, v[6:7]
	s_wait_dscnt 0x0
	s_barrier_signal -1
	s_barrier_wait -1
	s_and_saveexec_b32 s9, s2
	s_cbranch_execz .LBB95_57
; %bb.54:
	ds_load_b32 v4, v11
	s_mov_b32 s2, exec_lo
	s_wait_dscnt 0x0
	v_cmpx_eq_u32_e64 v19, v4
	s_cbranch_execz .LBB95_56
; %bb.55:
	v_add_nc_u32_e32 v4, -8, v10
	ds_load_b64 v[4:5], v4
	s_wait_dscnt 0x0
	v_add_f64_e32 v[6:7], v[6:7], v[4:5]
.LBB95_56:
	s_or_b32 exec_lo, exec_lo, s2
.LBB95_57:
	s_delay_alu instid0(SALU_CYCLE_1)
	s_or_b32 exec_lo, exec_lo, s9
	s_barrier_signal -1
	s_barrier_wait -1
	ds_store_b64 v10, v[6:7]
	s_wait_dscnt 0x0
	s_barrier_signal -1
	s_barrier_wait -1
	s_and_saveexec_b32 s2, s3
	s_cbranch_execz .LBB95_61
; %bb.58:
	ds_load_b32 v4, v12
	s_mov_b32 s3, exec_lo
	s_wait_dscnt 0x0
	v_cmpx_eq_u32_e64 v19, v4
	s_cbranch_execz .LBB95_60
; %bb.59:
	v_add_nc_u32_e32 v4, -16, v10
	ds_load_b64 v[4:5], v4
	s_wait_dscnt 0x0
	v_add_f64_e32 v[6:7], v[6:7], v[4:5]
.LBB95_60:
	s_or_b32 exec_lo, exec_lo, s3
.LBB95_61:
	s_delay_alu instid0(SALU_CYCLE_1)
	s_or_b32 exec_lo, exec_lo, s2
	s_barrier_signal -1
	s_barrier_wait -1
	ds_store_b64 v10, v[6:7]
	s_wait_dscnt 0x0
	s_barrier_signal -1
	s_barrier_wait -1
	s_and_saveexec_b32 s2, s4
	s_cbranch_execz .LBB95_65
; %bb.62:
	ds_load_b32 v4, v13
	s_mov_b32 s3, exec_lo
	s_wait_dscnt 0x0
	v_cmpx_eq_u32_e64 v19, v4
	s_cbranch_execz .LBB95_64
; %bb.63:
	v_subrev_nc_u32_e32 v4, 32, v10
	ds_load_b64 v[4:5], v4
	s_wait_dscnt 0x0
	v_add_f64_e32 v[6:7], v[6:7], v[4:5]
.LBB95_64:
	s_or_b32 exec_lo, exec_lo, s3
.LBB95_65:
	s_delay_alu instid0(SALU_CYCLE_1)
	s_or_b32 exec_lo, exec_lo, s2
	s_barrier_signal -1
	s_barrier_wait -1
	ds_store_b64 v10, v[6:7]
	s_wait_dscnt 0x0
	s_barrier_signal -1
	s_barrier_wait -1
	s_and_saveexec_b32 s2, s5
	s_cbranch_execz .LBB95_69
; %bb.66:
	ds_load_b32 v4, v14
	s_mov_b32 s3, exec_lo
	s_wait_dscnt 0x0
	v_cmpx_eq_u32_e64 v19, v4
	s_cbranch_execz .LBB95_68
; %bb.67:
	v_subrev_nc_u32_e32 v4, 64, v10
	ds_load_b64 v[4:5], v4
	s_wait_dscnt 0x0
	v_add_f64_e32 v[6:7], v[6:7], v[4:5]
.LBB95_68:
	s_or_b32 exec_lo, exec_lo, s3
.LBB95_69:
	s_delay_alu instid0(SALU_CYCLE_1)
	s_or_b32 exec_lo, exec_lo, s2
	s_barrier_signal -1
	s_barrier_wait -1
	ds_store_b64 v10, v[6:7]
	s_wait_dscnt 0x0
	s_barrier_signal -1
	s_barrier_wait -1
	s_and_saveexec_b32 s2, s6
	s_cbranch_execz .LBB95_73
; %bb.70:
	ds_load_b32 v4, v15
	s_mov_b32 s3, exec_lo
	s_wait_dscnt 0x0
	v_cmpx_eq_u32_e64 v19, v4
	s_cbranch_execz .LBB95_72
; %bb.71:
	v_add_nc_u32_e32 v4, 0xffffff80, v10
	ds_load_b64 v[4:5], v4
	s_wait_dscnt 0x0
	v_add_f64_e32 v[6:7], v[6:7], v[4:5]
.LBB95_72:
	s_or_b32 exec_lo, exec_lo, s3
.LBB95_73:
	s_delay_alu instid0(SALU_CYCLE_1)
	s_or_b32 exec_lo, exec_lo, s2
	s_barrier_signal -1
	s_barrier_wait -1
	ds_store_b64 v10, v[6:7]
	s_wait_dscnt 0x0
	s_barrier_signal -1
	s_barrier_wait -1
	s_and_saveexec_b32 s2, s7
	s_cbranch_execz .LBB95_77
; %bb.74:
	ds_load_b32 v4, v16
	s_mov_b32 s3, exec_lo
	s_wait_dscnt 0x0
	v_cmpx_eq_u32_e64 v19, v4
	s_cbranch_execz .LBB95_76
; %bb.75:
	v_add_nc_u32_e32 v4, 0xffffff00, v10
	ds_load_b64 v[4:5], v4
	s_wait_dscnt 0x0
	v_add_f64_e32 v[6:7], v[6:7], v[4:5]
.LBB95_76:
	s_or_b32 exec_lo, exec_lo, s3
.LBB95_77:
	;; [unrolled: 24-line block ×4, first 2 shown]
	s_delay_alu instid0(SALU_CYCLE_1)
	s_or_b32 exec_lo, exec_lo, s2
	s_barrier_signal -1
	s_barrier_wait -1
	ds_store_b64 v10, v[6:7]
	s_wait_dscnt 0x0
	s_barrier_signal -1
	s_barrier_wait -1
	s_and_saveexec_b32 s2, s1
	s_cbranch_execz .LBB95_88
; %bb.86:
	ds_load_b32 v1, v1 offset:4
	v_cmp_lt_i32_e64 s0, -1, v19
	s_wait_dscnt 0x0
	v_cmp_ne_u32_e32 vcc_lo, v19, v1
	s_and_b32 s0, s0, vcc_lo
	s_delay_alu instid0(SALU_CYCLE_1)
	s_and_b32 exec_lo, exec_lo, s0
	s_cbranch_execz .LBB95_88
; %bb.87:
	v_mul_f64_e32 v[4:5], v[2:3], v[6:7]
	s_wait_kmcnt 0x0
	global_atomic_add_f64 v19, v[4:5], s[22:23] scale_offset scope:SCOPE_DEV
.LBB95_88:
	s_wait_xcnt 0x0
	s_or_b32 exec_lo, exec_lo, s2
	v_cmp_eq_u32_e32 vcc_lo, 0xff, v0
	v_cmp_lt_i32_e64 s0, -1, v19
	s_and_b32 s0, vcc_lo, s0
	s_delay_alu instid0(SALU_CYCLE_1)
	s_and_b32 exec_lo, exec_lo, s0
	s_cbranch_execz .LBB95_90
; %bb.89:
	v_mul_f64_e32 v[0:1], v[2:3], v[6:7]
	s_wait_kmcnt 0x0
	global_atomic_add_f64 v19, v[0:1], s[22:23] scale_offset scope:SCOPE_DEV
.LBB95_90:
	s_endpgm
	.section	.rodata,"a",@progbits
	.p2align	6, 0x0
	.amdhsa_kernel _ZN9rocsparseL19coomvn_atomic_loopsILj256ELj2EifdddEEvlNS_24const_host_device_scalarIT5_EEPKT1_S6_PKT2_PKT3_PT4_21rocsparse_index_base_b
		.amdhsa_group_segment_fixed_size 3072
		.amdhsa_private_segment_fixed_size 0
		.amdhsa_kernarg_size 64
		.amdhsa_user_sgpr_count 2
		.amdhsa_user_sgpr_dispatch_ptr 0
		.amdhsa_user_sgpr_queue_ptr 0
		.amdhsa_user_sgpr_kernarg_segment_ptr 1
		.amdhsa_user_sgpr_dispatch_id 0
		.amdhsa_user_sgpr_kernarg_preload_length 0
		.amdhsa_user_sgpr_kernarg_preload_offset 0
		.amdhsa_user_sgpr_private_segment_size 0
		.amdhsa_wavefront_size32 1
		.amdhsa_uses_dynamic_stack 0
		.amdhsa_enable_private_segment 0
		.amdhsa_system_sgpr_workgroup_id_x 1
		.amdhsa_system_sgpr_workgroup_id_y 0
		.amdhsa_system_sgpr_workgroup_id_z 0
		.amdhsa_system_sgpr_workgroup_info 0
		.amdhsa_system_vgpr_workitem_id 0
		.amdhsa_next_free_vgpr 22
		.amdhsa_next_free_sgpr 26
		.amdhsa_named_barrier_count 0
		.amdhsa_reserve_vcc 1
		.amdhsa_float_round_mode_32 0
		.amdhsa_float_round_mode_16_64 0
		.amdhsa_float_denorm_mode_32 3
		.amdhsa_float_denorm_mode_16_64 3
		.amdhsa_fp16_overflow 0
		.amdhsa_memory_ordered 1
		.amdhsa_forward_progress 1
		.amdhsa_inst_pref_size 21
		.amdhsa_round_robin_scheduling 0
		.amdhsa_exception_fp_ieee_invalid_op 0
		.amdhsa_exception_fp_denorm_src 0
		.amdhsa_exception_fp_ieee_div_zero 0
		.amdhsa_exception_fp_ieee_overflow 0
		.amdhsa_exception_fp_ieee_underflow 0
		.amdhsa_exception_fp_ieee_inexact 0
		.amdhsa_exception_int_div_zero 0
	.end_amdhsa_kernel
	.section	.text._ZN9rocsparseL19coomvn_atomic_loopsILj256ELj2EifdddEEvlNS_24const_host_device_scalarIT5_EEPKT1_S6_PKT2_PKT3_PT4_21rocsparse_index_base_b,"axG",@progbits,_ZN9rocsparseL19coomvn_atomic_loopsILj256ELj2EifdddEEvlNS_24const_host_device_scalarIT5_EEPKT1_S6_PKT2_PKT3_PT4_21rocsparse_index_base_b,comdat
.Lfunc_end95:
	.size	_ZN9rocsparseL19coomvn_atomic_loopsILj256ELj2EifdddEEvlNS_24const_host_device_scalarIT5_EEPKT1_S6_PKT2_PKT3_PT4_21rocsparse_index_base_b, .Lfunc_end95-_ZN9rocsparseL19coomvn_atomic_loopsILj256ELj2EifdddEEvlNS_24const_host_device_scalarIT5_EEPKT1_S6_PKT2_PKT3_PT4_21rocsparse_index_base_b
                                        ; -- End function
	.set _ZN9rocsparseL19coomvn_atomic_loopsILj256ELj2EifdddEEvlNS_24const_host_device_scalarIT5_EEPKT1_S6_PKT2_PKT3_PT4_21rocsparse_index_base_b.num_vgpr, 22
	.set _ZN9rocsparseL19coomvn_atomic_loopsILj256ELj2EifdddEEvlNS_24const_host_device_scalarIT5_EEPKT1_S6_PKT2_PKT3_PT4_21rocsparse_index_base_b.num_agpr, 0
	.set _ZN9rocsparseL19coomvn_atomic_loopsILj256ELj2EifdddEEvlNS_24const_host_device_scalarIT5_EEPKT1_S6_PKT2_PKT3_PT4_21rocsparse_index_base_b.numbered_sgpr, 26
	.set _ZN9rocsparseL19coomvn_atomic_loopsILj256ELj2EifdddEEvlNS_24const_host_device_scalarIT5_EEPKT1_S6_PKT2_PKT3_PT4_21rocsparse_index_base_b.num_named_barrier, 0
	.set _ZN9rocsparseL19coomvn_atomic_loopsILj256ELj2EifdddEEvlNS_24const_host_device_scalarIT5_EEPKT1_S6_PKT2_PKT3_PT4_21rocsparse_index_base_b.private_seg_size, 0
	.set _ZN9rocsparseL19coomvn_atomic_loopsILj256ELj2EifdddEEvlNS_24const_host_device_scalarIT5_EEPKT1_S6_PKT2_PKT3_PT4_21rocsparse_index_base_b.uses_vcc, 1
	.set _ZN9rocsparseL19coomvn_atomic_loopsILj256ELj2EifdddEEvlNS_24const_host_device_scalarIT5_EEPKT1_S6_PKT2_PKT3_PT4_21rocsparse_index_base_b.uses_flat_scratch, 0
	.set _ZN9rocsparseL19coomvn_atomic_loopsILj256ELj2EifdddEEvlNS_24const_host_device_scalarIT5_EEPKT1_S6_PKT2_PKT3_PT4_21rocsparse_index_base_b.has_dyn_sized_stack, 0
	.set _ZN9rocsparseL19coomvn_atomic_loopsILj256ELj2EifdddEEvlNS_24const_host_device_scalarIT5_EEPKT1_S6_PKT2_PKT3_PT4_21rocsparse_index_base_b.has_recursion, 0
	.set _ZN9rocsparseL19coomvn_atomic_loopsILj256ELj2EifdddEEvlNS_24const_host_device_scalarIT5_EEPKT1_S6_PKT2_PKT3_PT4_21rocsparse_index_base_b.has_indirect_call, 0
	.section	.AMDGPU.csdata,"",@progbits
; Kernel info:
; codeLenInByte = 2688
; TotalNumSgprs: 28
; NumVgprs: 22
; ScratchSize: 0
; MemoryBound: 0
; FloatMode: 240
; IeeeMode: 1
; LDSByteSize: 3072 bytes/workgroup (compile time only)
; SGPRBlocks: 0
; VGPRBlocks: 1
; NumSGPRsForWavesPerEU: 28
; NumVGPRsForWavesPerEU: 22
; NamedBarCnt: 0
; Occupancy: 16
; WaveLimiterHint : 1
; COMPUTE_PGM_RSRC2:SCRATCH_EN: 0
; COMPUTE_PGM_RSRC2:USER_SGPR: 2
; COMPUTE_PGM_RSRC2:TRAP_HANDLER: 0
; COMPUTE_PGM_RSRC2:TGID_X_EN: 1
; COMPUTE_PGM_RSRC2:TGID_Y_EN: 0
; COMPUTE_PGM_RSRC2:TGID_Z_EN: 0
; COMPUTE_PGM_RSRC2:TIDIG_COMP_CNT: 0
	.section	.text._ZN9rocsparseL22coomvn_segmented_loopsILj256ElfdddEEvlT0_NS_24const_host_device_scalarIT4_EEPKS1_S6_PKT1_PKT2_PT3_PS1_PS3_21rocsparse_index_base_b,"axG",@progbits,_ZN9rocsparseL22coomvn_segmented_loopsILj256ElfdddEEvlT0_NS_24const_host_device_scalarIT4_EEPKS1_S6_PKT1_PKT2_PT3_PS1_PS3_21rocsparse_index_base_b,comdat
	.globl	_ZN9rocsparseL22coomvn_segmented_loopsILj256ElfdddEEvlT0_NS_24const_host_device_scalarIT4_EEPKS1_S6_PKT1_PKT2_PT3_PS1_PS3_21rocsparse_index_base_b ; -- Begin function _ZN9rocsparseL22coomvn_segmented_loopsILj256ElfdddEEvlT0_NS_24const_host_device_scalarIT4_EEPKS1_S6_PKT1_PKT2_PT3_PS1_PS3_21rocsparse_index_base_b
	.p2align	8
	.type	_ZN9rocsparseL22coomvn_segmented_loopsILj256ElfdddEEvlT0_NS_24const_host_device_scalarIT4_EEPKS1_S6_PKT1_PKT2_PT3_PS1_PS3_21rocsparse_index_base_b,@function
_ZN9rocsparseL22coomvn_segmented_loopsILj256ElfdddEEvlT0_NS_24const_host_device_scalarIT4_EEPKS1_S6_PKT1_PKT2_PT3_PS1_PS3_21rocsparse_index_base_b: ; @_ZN9rocsparseL22coomvn_segmented_loopsILj256ElfdddEEvlT0_NS_24const_host_device_scalarIT4_EEPKS1_S6_PKT1_PKT2_PT3_PS1_PS3_21rocsparse_index_base_b
; %bb.0:
	s_clause 0x1
	s_load_b64 s[14:15], s[0:1], 0x50
	s_load_b64 s[2:3], s[0:1], 0x10
	s_wait_kmcnt 0x0
	s_bitcmp1_b32 s15, 0
	v_mov_b64_e32 v[2:3], s[2:3]
	s_cselect_b32 s4, -1, 0
	s_delay_alu instid0(SALU_CYCLE_1)
	s_and_b32 vcc_lo, exec_lo, s4
	s_cbranch_vccnz .LBB96_2
; %bb.1:
	v_mov_b32_e32 v1, 0
	flat_load_b64 v[2:3], v1, s[2:3]
.LBB96_2:
	s_wait_xcnt 0x0
	s_mov_b32 s2, exec_lo
	s_wait_loadcnt_dscnt 0x0
	v_cmpx_neq_f64_e32 0, v[2:3]
	s_cbranch_execz .LBB96_89
; %bb.3:
	s_load_b128 s[24:27], s[0:1], 0x0
	s_bfe_u32 s2, ttmp6, 0x4000c
	s_load_b256 s[16:23], s[0:1], 0x18
	s_add_co_i32 s2, s2, 1
	s_and_b32 s3, ttmp6, 15
	s_mul_i32 s2, ttmp9, s2
	s_getreg_b32 s4, hwreg(HW_REG_IB_STS2, 6, 4)
	s_add_co_i32 s3, s3, s2
	s_cmp_eq_u32 s4, 0
	s_mov_b32 s29, 0
	s_cselect_b32 s28, ttmp9, s3
	v_mov_b64_e32 v[6:7], 0
	v_mov_b64_e32 v[4:5], -1
	s_wait_kmcnt 0x0
	s_mul_u64 s[34:35], s[28:29], s[26:27]
	s_delay_alu instid0(SALU_CYCLE_1) | instskip(NEXT) | instid1(SALU_CYCLE_1)
	s_lshl_b64 s[2:3], s[34:35], 8
	v_dual_mov_b32 v9, s3 :: v_dual_bitop2_b32 v8, s2, v0 bitop3:0x54
	s_mov_b32 s2, exec_lo
	s_delay_alu instid0(VALU_DEP_1)
	v_cmpx_gt_i64_e64 s[24:25], v[8:9]
	s_cbranch_execz .LBB96_5
; %bb.4:
	v_lshlrev_b64_e32 v[4:5], 3, v[8:9]
	s_mov_b32 s15, s29
	s_delay_alu instid0(VALU_DEP_1)
	v_add_nc_u64_e32 v[6:7], s[16:17], v[4:5]
	v_add_nc_u64_e32 v[4:5], s[18:19], v[4:5]
	global_load_b64 v[10:11], v[6:7], off th:TH_LOAD_NT
	global_load_b64 v[12:13], v[4:5], off th:TH_LOAD_NT
	s_wait_xcnt 0x0
	v_lshl_add_u64 v[4:5], v[8:9], 2, s[20:21]
	global_load_b32 v1, v[4:5], off th:TH_LOAD_NT
	s_wait_loadcnt 0x2
	s_wait_xcnt 0x0
	v_sub_nc_u64_e64 v[4:5], v[10:11], s[14:15]
	s_wait_loadcnt 0x1
	v_lshl_add_u64 v[6:7], v[12:13], 3, s[22:23]
	s_ashr_i32 s15, s14, 31
	s_delay_alu instid0(SALU_CYCLE_1)
	s_lshl_b64 s[4:5], s[14:15], 3
	s_delay_alu instid0(VALU_DEP_1) | instid1(SALU_CYCLE_1)
	v_sub_nc_u64_e64 v[6:7], v[6:7], s[4:5]
	s_wait_loadcnt 0x0
	v_cvt_f64_f32_e32 v[10:11], v1
	global_load_b64 v[6:7], v[6:7], off
	s_wait_loadcnt 0x0
	v_mul_f64_e32 v[6:7], v[6:7], v[10:11]
.LBB96_5:
	s_or_b32 exec_lo, exec_lo, s2
	v_lshlrev_b32_e32 v1, 3, v0
	v_cmp_eq_u32_e64 s2, 0, v0
	v_cmp_ne_u32_e64 s3, 0, v0
	s_delay_alu instid0(VALU_DEP_3)
	v_or_b32_e32 v20, 0x800, v1
	v_add_nc_u32_e32 v21, -8, v1
	ds_store_2addr_stride64_b64 v1, v[4:5], v[6:7] offset1:4
	s_wait_dscnt 0x0
	s_barrier_signal -1
	s_barrier_wait -1
	s_and_saveexec_b32 s4, s3
	s_cbranch_execz .LBB96_9
; %bb.6:
	ds_load_b64 v[10:11], v21
	s_mov_b32 s5, exec_lo
	s_wait_dscnt 0x0
	v_cmpx_eq_u64_e64 v[4:5], v[10:11]
	s_cbranch_execz .LBB96_8
; %bb.7:
	v_add_nc_u32_e32 v10, -8, v20
	ds_load_b64 v[10:11], v10
	s_wait_dscnt 0x0
	v_add_f64_e32 v[6:7], v[6:7], v[10:11]
.LBB96_8:
	s_or_b32 exec_lo, exec_lo, s5
.LBB96_9:
	s_delay_alu instid0(SALU_CYCLE_1)
	s_or_b32 exec_lo, exec_lo, s4
	v_cmp_lt_u32_e64 s4, 1, v0
	v_add_nc_u32_e32 v22, -16, v1
	s_barrier_signal -1
	s_barrier_wait -1
	ds_store_b64 v20, v[6:7]
	s_wait_dscnt 0x0
	s_barrier_signal -1
	s_barrier_wait -1
	s_and_saveexec_b32 s5, s4
	s_cbranch_execz .LBB96_13
; %bb.10:
	ds_load_b64 v[10:11], v22
	s_mov_b32 s6, exec_lo
	s_wait_dscnt 0x0
	v_cmpx_eq_u64_e64 v[4:5], v[10:11]
	s_cbranch_execz .LBB96_12
; %bb.11:
	v_add_nc_u32_e32 v10, -16, v20
	ds_load_b64 v[10:11], v10
	s_wait_dscnt 0x0
	v_add_f64_e32 v[6:7], v[6:7], v[10:11]
.LBB96_12:
	s_or_b32 exec_lo, exec_lo, s6
.LBB96_13:
	s_delay_alu instid0(SALU_CYCLE_1)
	s_or_b32 exec_lo, exec_lo, s5
	v_cmp_lt_u32_e64 s5, 3, v0
	v_subrev_nc_u32_e32 v23, 32, v1
	s_barrier_signal -1
	s_barrier_wait -1
	ds_store_b64 v20, v[6:7]
	s_wait_dscnt 0x0
	s_barrier_signal -1
	s_barrier_wait -1
	s_and_saveexec_b32 s6, s5
	s_cbranch_execz .LBB96_17
; %bb.14:
	ds_load_b64 v[10:11], v23
	s_mov_b32 s7, exec_lo
	s_wait_dscnt 0x0
	v_cmpx_eq_u64_e64 v[4:5], v[10:11]
	s_cbranch_execz .LBB96_16
; %bb.15:
	v_subrev_nc_u32_e32 v10, 32, v20
	ds_load_b64 v[10:11], v10
	s_wait_dscnt 0x0
	v_add_f64_e32 v[6:7], v[6:7], v[10:11]
.LBB96_16:
	s_or_b32 exec_lo, exec_lo, s7
.LBB96_17:
	s_delay_alu instid0(SALU_CYCLE_1)
	s_or_b32 exec_lo, exec_lo, s6
	v_cmp_lt_u32_e64 s6, 7, v0
	v_subrev_nc_u32_e32 v24, 64, v1
	s_barrier_signal -1
	s_barrier_wait -1
	ds_store_b64 v20, v[6:7]
	s_wait_dscnt 0x0
	s_barrier_signal -1
	s_barrier_wait -1
	s_and_saveexec_b32 s7, s6
	s_cbranch_execz .LBB96_21
; %bb.18:
	ds_load_b64 v[10:11], v24
	s_mov_b32 s8, exec_lo
	s_wait_dscnt 0x0
	v_cmpx_eq_u64_e64 v[4:5], v[10:11]
	s_cbranch_execz .LBB96_20
; %bb.19:
	v_subrev_nc_u32_e32 v10, 64, v20
	ds_load_b64 v[10:11], v10
	s_wait_dscnt 0x0
	v_add_f64_e32 v[6:7], v[6:7], v[10:11]
.LBB96_20:
	s_or_b32 exec_lo, exec_lo, s8
.LBB96_21:
	s_delay_alu instid0(SALU_CYCLE_1)
	s_or_b32 exec_lo, exec_lo, s7
	v_cmp_lt_u32_e64 s7, 15, v0
	v_add_nc_u32_e32 v25, 0xffffff80, v1
	s_barrier_signal -1
	s_barrier_wait -1
	ds_store_b64 v20, v[6:7]
	s_wait_dscnt 0x0
	s_barrier_signal -1
	s_barrier_wait -1
	s_and_saveexec_b32 s8, s7
	s_cbranch_execz .LBB96_25
; %bb.22:
	ds_load_b64 v[10:11], v25
	s_mov_b32 s9, exec_lo
	s_wait_dscnt 0x0
	v_cmpx_eq_u64_e64 v[4:5], v[10:11]
	s_cbranch_execz .LBB96_24
; %bb.23:
	v_add_nc_u32_e32 v10, 0xffffff80, v20
	ds_load_b64 v[10:11], v10
	s_wait_dscnt 0x0
	v_add_f64_e32 v[6:7], v[6:7], v[10:11]
.LBB96_24:
	s_or_b32 exec_lo, exec_lo, s9
.LBB96_25:
	s_delay_alu instid0(SALU_CYCLE_1)
	s_or_b32 exec_lo, exec_lo, s8
	v_cmp_lt_u32_e64 s8, 31, v0
	v_add_nc_u32_e32 v26, 0xffffff00, v1
	s_barrier_signal -1
	s_barrier_wait -1
	ds_store_b64 v20, v[6:7]
	s_wait_dscnt 0x0
	s_barrier_signal -1
	s_barrier_wait -1
	s_and_saveexec_b32 s9, s8
	s_cbranch_execz .LBB96_29
; %bb.26:
	ds_load_b64 v[10:11], v26
	s_mov_b32 s10, exec_lo
	s_wait_dscnt 0x0
	v_cmpx_eq_u64_e64 v[4:5], v[10:11]
	s_cbranch_execz .LBB96_28
; %bb.27:
	v_add_nc_u32_e32 v10, 0xffffff00, v20
	ds_load_b64 v[10:11], v10
	s_wait_dscnt 0x0
	v_add_f64_e32 v[6:7], v[6:7], v[10:11]
.LBB96_28:
	s_or_b32 exec_lo, exec_lo, s10
.LBB96_29:
	;; [unrolled: 26-line block ×4, first 2 shown]
	s_delay_alu instid0(SALU_CYCLE_1)
	s_or_b32 exec_lo, exec_lo, s11
	s_load_b64 s[30:31], s[0:1], 0x38
	v_cmp_gt_u32_e64 s11, 0xff, v0
	s_barrier_signal -1
	s_barrier_wait -1
	ds_store_b64 v20, v[6:7]
	s_wait_dscnt 0x0
	s_barrier_signal -1
	s_barrier_wait -1
	s_and_saveexec_b32 s13, s11
	s_cbranch_execz .LBB96_40
; %bb.38:
	ds_load_b64 v[10:11], v1 offset:8
	v_cmp_lt_i64_e64 s12, -1, v[4:5]
	s_wait_dscnt 0x0
	v_cmp_ne_u64_e32 vcc_lo, v[4:5], v[10:11]
	s_and_b32 s12, s12, vcc_lo
	s_delay_alu instid0(SALU_CYCLE_1)
	s_and_b32 exec_lo, exec_lo, s12
	s_cbranch_execz .LBB96_40
; %bb.39:
	s_wait_kmcnt 0x0
	v_lshl_add_u64 v[10:11], v[4:5], 3, s[30:31]
	global_load_b64 v[12:13], v[10:11], off
	s_wait_loadcnt 0x0
	v_fmac_f64_e32 v[12:13], v[2:3], v[6:7]
	global_store_b64 v[10:11], v[12:13], off
.LBB96_40:
	s_wait_xcnt 0x0
	s_or_b32 exec_lo, exec_lo, s13
	v_cmp_lt_i64_e64 s12, s[26:27], 2
	s_and_b32 vcc_lo, exec_lo, s12
	s_cbranch_vccnz .LBB96_87
; %bb.41:
	s_lshl_b64 s[36:37], s[34:35], 11
	v_dual_mov_b32 v11, 0 :: v_dual_add_nc_u32 v29, -8, v20
	v_lshl_or_b32 v4, v0, 3, s36
	v_dual_mov_b32 v5, s37 :: v_dual_lshlrev_b32 v10, 2, v0
	s_lshl_b64 s[34:35], s[34:35], 10
	v_add_nc_u64_e32 v[8:9], 0x100, v[8:9]
	s_add_nc_u64 s[20:21], s[20:21], s[34:35]
	s_delay_alu instid0(VALU_DEP_2)
	v_add_nc_u64_e32 v[4:5], 0x800, v[4:5]
	v_add_nc_u64_e32 v[6:7], s[20:21], v[10:11]
	s_ashr_i32 s13, s14, 31
	s_mov_b32 s12, s14
	v_add_nc_u32_e32 v10, -16, v20
	v_subrev_nc_u32_e32 v30, 32, v20
	v_subrev_nc_u32_e32 v31, 64, v20
	v_add_nc_u64_e32 v[12:13], s[18:19], v[4:5]
	v_add_nc_u64_e32 v[14:15], 0x400, v[6:7]
	;; [unrolled: 1-line block ×3, first 2 shown]
	v_add_nc_u32_e32 v32, 0xffffff80, v20
	v_add_nc_u32_e32 v33, 0xffffff00, v20
	;; [unrolled: 1-line block ×4, first 2 shown]
	s_lshl_b64 s[12:13], s[12:13], 3
	s_add_nc_u64 s[26:27], s[26:27], -1
	s_mov_b32 s15, 0
	s_sub_nc_u64 s[16:17], s[22:23], s[12:13]
	s_mov_b64 s[18:19], 0
	s_branch .LBB96_43
.LBB96_42:                              ;   in Loop: Header=BB96_43 Depth=1
	s_wait_xcnt 0x0
	s_or_b32 exec_lo, exec_lo, s13
	s_add_nc_u64 s[18:19], s[18:19], 1
	v_add_nc_u64_e32 v[12:13], 0x800, v[12:13]
	v_cmp_le_u64_e64 s12, s[26:27], s[18:19]
	v_add_nc_u64_e32 v[14:15], 0x400, v[14:15]
	v_add_nc_u64_e32 v[16:17], 0x800, v[16:17]
	;; [unrolled: 1-line block ×3, first 2 shown]
	s_and_b32 vcc_lo, exec_lo, s12
	s_cbranch_vccnz .LBB96_87
.LBB96_43:                              ; =>This Inner Loop Header: Depth=1
	v_mov_b64_e32 v[6:7], 0
	v_mov_b64_e32 v[4:5], -1
	s_mov_b32 s12, exec_lo
	s_delay_alu instid0(VALU_DEP_3)
	v_cmpx_gt_i64_e64 s[24:25], v[8:9]
	s_cbranch_execz .LBB96_45
; %bb.44:                               ;   in Loop: Header=BB96_43 Depth=1
	global_load_b64 v[4:5], v[12:13], off th:TH_LOAD_NT
	global_load_b32 v36, v[14:15], off th:TH_LOAD_NT
	s_wait_loadcnt 0x1
	v_lshl_add_u64 v[4:5], v[4:5], 3, s[16:17]
	global_load_b64 v[6:7], v[4:5], off
	global_load_b64 v[18:19], v[16:17], off th:TH_LOAD_NT
	s_wait_loadcnt 0x2
	s_wait_xcnt 0x1
	v_cvt_f64_f32_e32 v[4:5], v36
	s_wait_loadcnt 0x1
	s_delay_alu instid0(VALU_DEP_1)
	v_mul_f64_e32 v[6:7], v[6:7], v[4:5]
	s_wait_loadcnt 0x0
	v_sub_nc_u64_e64 v[4:5], v[18:19], s[14:15]
.LBB96_45:                              ;   in Loop: Header=BB96_43 Depth=1
	s_wait_xcnt 0x0
	s_or_b32 exec_lo, exec_lo, s12
	s_and_saveexec_b32 s12, s2
	s_cbranch_execz .LBB96_52
; %bb.46:                               ;   in Loop: Header=BB96_43 Depth=1
	ds_load_b64 v[18:19], v11 offset:2040
	s_mov_b32 s13, exec_lo
	s_wait_dscnt 0x0
	v_cmpx_ne_u64_e64 v[4:5], v[18:19]
	s_xor_b32 s13, exec_lo, s13
	s_cbranch_execz .LBB96_49
; %bb.47:                               ;   in Loop: Header=BB96_43 Depth=1
	v_cmp_gt_i64_e32 vcc_lo, 0, v[18:19]
	s_cbranch_vccnz .LBB96_49
; %bb.48:                               ;   in Loop: Header=BB96_43 Depth=1
	v_lshlrev_b64_e32 v[18:19], 3, v[18:19]
	ds_load_b64 v[38:39], v11 offset:4088
	s_wait_kmcnt 0x0
	v_add_nc_u64_e32 v[18:19], s[30:31], v[18:19]
	global_load_b64 v[36:37], v[18:19], off
	s_wait_loadcnt_dscnt 0x0
	v_fmac_f64_e32 v[36:37], v[2:3], v[38:39]
	global_store_b64 v[18:19], v[36:37], off
.LBB96_49:                              ;   in Loop: Header=BB96_43 Depth=1
	s_wait_xcnt 0x0
	s_and_not1_saveexec_b32 s13, s13
	s_cbranch_execz .LBB96_51
; %bb.50:                               ;   in Loop: Header=BB96_43 Depth=1
	ds_load_b64 v[18:19], v11 offset:4088
	s_wait_dscnt 0x0
	v_add_f64_e32 v[6:7], v[6:7], v[18:19]
.LBB96_51:                              ;   in Loop: Header=BB96_43 Depth=1
	s_or_b32 exec_lo, exec_lo, s13
.LBB96_52:                              ;   in Loop: Header=BB96_43 Depth=1
	s_delay_alu instid0(SALU_CYCLE_1)
	s_or_b32 exec_lo, exec_lo, s12
	s_wait_storecnt 0x0
	s_barrier_signal -1
	s_barrier_wait -1
	ds_store_b64 v1, v[4:5]
	ds_store_b64 v20, v[6:7]
	s_wait_dscnt 0x0
	s_barrier_signal -1
	s_barrier_wait -1
	s_and_saveexec_b32 s12, s3
	s_cbranch_execz .LBB96_56
; %bb.53:                               ;   in Loop: Header=BB96_43 Depth=1
	ds_load_b64 v[18:19], v21
	s_mov_b32 s13, exec_lo
	s_wait_dscnt 0x0
	v_cmpx_eq_u64_e64 v[4:5], v[18:19]
	s_cbranch_execz .LBB96_55
; %bb.54:                               ;   in Loop: Header=BB96_43 Depth=1
	ds_load_b64 v[18:19], v29
	s_wait_dscnt 0x0
	v_add_f64_e32 v[6:7], v[6:7], v[18:19]
.LBB96_55:                              ;   in Loop: Header=BB96_43 Depth=1
	s_or_b32 exec_lo, exec_lo, s13
.LBB96_56:                              ;   in Loop: Header=BB96_43 Depth=1
	s_delay_alu instid0(SALU_CYCLE_1)
	s_or_b32 exec_lo, exec_lo, s12
	s_barrier_signal -1
	s_barrier_wait -1
	ds_store_b64 v20, v[6:7]
	s_wait_dscnt 0x0
	s_barrier_signal -1
	s_barrier_wait -1
	s_and_saveexec_b32 s12, s4
	s_cbranch_execz .LBB96_60
; %bb.57:                               ;   in Loop: Header=BB96_43 Depth=1
	ds_load_b64 v[18:19], v22
	s_mov_b32 s13, exec_lo
	s_wait_dscnt 0x0
	v_cmpx_eq_u64_e64 v[4:5], v[18:19]
	s_cbranch_execz .LBB96_59
; %bb.58:                               ;   in Loop: Header=BB96_43 Depth=1
	ds_load_b64 v[18:19], v10
	s_wait_dscnt 0x0
	v_add_f64_e32 v[6:7], v[6:7], v[18:19]
.LBB96_59:                              ;   in Loop: Header=BB96_43 Depth=1
	s_or_b32 exec_lo, exec_lo, s13
.LBB96_60:                              ;   in Loop: Header=BB96_43 Depth=1
	s_delay_alu instid0(SALU_CYCLE_1)
	s_or_b32 exec_lo, exec_lo, s12
	s_barrier_signal -1
	s_barrier_wait -1
	;; [unrolled: 23-line block ×8, first 2 shown]
	ds_store_b64 v20, v[6:7]
	s_wait_dscnt 0x0
	s_barrier_signal -1
	s_barrier_wait -1
	s_and_saveexec_b32 s13, s11
	s_cbranch_execz .LBB96_42
; %bb.85:                               ;   in Loop: Header=BB96_43 Depth=1
	ds_load_b64 v[18:19], v1 offset:8
	v_cmp_lt_i64_e64 s12, -1, v[4:5]
	s_wait_dscnt 0x0
	v_cmp_ne_u64_e32 vcc_lo, v[4:5], v[18:19]
	s_and_b32 s12, s12, vcc_lo
	s_delay_alu instid0(SALU_CYCLE_1)
	s_and_b32 exec_lo, exec_lo, s12
	s_cbranch_execz .LBB96_42
; %bb.86:                               ;   in Loop: Header=BB96_43 Depth=1
	s_wait_kmcnt 0x0
	v_lshl_add_u64 v[18:19], v[4:5], 3, s[30:31]
	global_load_b64 v[36:37], v[18:19], off
	s_wait_loadcnt 0x0
	v_fmac_f64_e32 v[36:37], v[2:3], v[6:7]
	global_store_b64 v[18:19], v[36:37], off
	s_branch .LBB96_42
.LBB96_87:
	s_load_b128 s[4:7], s[0:1], 0x40
	v_cmp_eq_u32_e32 vcc_lo, 0xff, v0
	s_and_b32 exec_lo, exec_lo, vcc_lo
	s_cbranch_execz .LBB96_89
; %bb.88:
	v_dual_mul_f64 v[0:1], v[2:3], v[6:7] :: v_dual_mov_b32 v2, 0
	s_wait_xcnt 0x0
	s_lshl_b64 s[0:1], s[28:29], 3
	s_wait_kmcnt 0x0
	s_add_nc_u64 s[2:3], s[4:5], s[0:1]
	s_add_nc_u64 s[0:1], s[6:7], s[0:1]
	s_clause 0x1
	global_store_b64 v2, v[4:5], s[2:3] th:TH_STORE_NT
	global_store_b64 v2, v[0:1], s[0:1] th:TH_STORE_NT
.LBB96_89:
	s_endpgm
	.section	.rodata,"a",@progbits
	.p2align	6, 0x0
	.amdhsa_kernel _ZN9rocsparseL22coomvn_segmented_loopsILj256ElfdddEEvlT0_NS_24const_host_device_scalarIT4_EEPKS1_S6_PKT1_PKT2_PT3_PS1_PS3_21rocsparse_index_base_b
		.amdhsa_group_segment_fixed_size 4096
		.amdhsa_private_segment_fixed_size 0
		.amdhsa_kernarg_size 88
		.amdhsa_user_sgpr_count 2
		.amdhsa_user_sgpr_dispatch_ptr 0
		.amdhsa_user_sgpr_queue_ptr 0
		.amdhsa_user_sgpr_kernarg_segment_ptr 1
		.amdhsa_user_sgpr_dispatch_id 0
		.amdhsa_user_sgpr_kernarg_preload_length 0
		.amdhsa_user_sgpr_kernarg_preload_offset 0
		.amdhsa_user_sgpr_private_segment_size 0
		.amdhsa_wavefront_size32 1
		.amdhsa_uses_dynamic_stack 0
		.amdhsa_enable_private_segment 0
		.amdhsa_system_sgpr_workgroup_id_x 1
		.amdhsa_system_sgpr_workgroup_id_y 0
		.amdhsa_system_sgpr_workgroup_id_z 0
		.amdhsa_system_sgpr_workgroup_info 0
		.amdhsa_system_vgpr_workitem_id 0
		.amdhsa_next_free_vgpr 40
		.amdhsa_next_free_sgpr 38
		.amdhsa_named_barrier_count 0
		.amdhsa_reserve_vcc 1
		.amdhsa_float_round_mode_32 0
		.amdhsa_float_round_mode_16_64 0
		.amdhsa_float_denorm_mode_32 3
		.amdhsa_float_denorm_mode_16_64 3
		.amdhsa_fp16_overflow 0
		.amdhsa_memory_ordered 1
		.amdhsa_forward_progress 1
		.amdhsa_inst_pref_size 23
		.amdhsa_round_robin_scheduling 0
		.amdhsa_exception_fp_ieee_invalid_op 0
		.amdhsa_exception_fp_denorm_src 0
		.amdhsa_exception_fp_ieee_div_zero 0
		.amdhsa_exception_fp_ieee_overflow 0
		.amdhsa_exception_fp_ieee_underflow 0
		.amdhsa_exception_fp_ieee_inexact 0
		.amdhsa_exception_int_div_zero 0
	.end_amdhsa_kernel
	.section	.text._ZN9rocsparseL22coomvn_segmented_loopsILj256ElfdddEEvlT0_NS_24const_host_device_scalarIT4_EEPKS1_S6_PKT1_PKT2_PT3_PS1_PS3_21rocsparse_index_base_b,"axG",@progbits,_ZN9rocsparseL22coomvn_segmented_loopsILj256ElfdddEEvlT0_NS_24const_host_device_scalarIT4_EEPKS1_S6_PKT1_PKT2_PT3_PS1_PS3_21rocsparse_index_base_b,comdat
.Lfunc_end96:
	.size	_ZN9rocsparseL22coomvn_segmented_loopsILj256ElfdddEEvlT0_NS_24const_host_device_scalarIT4_EEPKS1_S6_PKT1_PKT2_PT3_PS1_PS3_21rocsparse_index_base_b, .Lfunc_end96-_ZN9rocsparseL22coomvn_segmented_loopsILj256ElfdddEEvlT0_NS_24const_host_device_scalarIT4_EEPKS1_S6_PKT1_PKT2_PT3_PS1_PS3_21rocsparse_index_base_b
                                        ; -- End function
	.set _ZN9rocsparseL22coomvn_segmented_loopsILj256ElfdddEEvlT0_NS_24const_host_device_scalarIT4_EEPKS1_S6_PKT1_PKT2_PT3_PS1_PS3_21rocsparse_index_base_b.num_vgpr, 40
	.set _ZN9rocsparseL22coomvn_segmented_loopsILj256ElfdddEEvlT0_NS_24const_host_device_scalarIT4_EEPKS1_S6_PKT1_PKT2_PT3_PS1_PS3_21rocsparse_index_base_b.num_agpr, 0
	.set _ZN9rocsparseL22coomvn_segmented_loopsILj256ElfdddEEvlT0_NS_24const_host_device_scalarIT4_EEPKS1_S6_PKT1_PKT2_PT3_PS1_PS3_21rocsparse_index_base_b.numbered_sgpr, 38
	.set _ZN9rocsparseL22coomvn_segmented_loopsILj256ElfdddEEvlT0_NS_24const_host_device_scalarIT4_EEPKS1_S6_PKT1_PKT2_PT3_PS1_PS3_21rocsparse_index_base_b.num_named_barrier, 0
	.set _ZN9rocsparseL22coomvn_segmented_loopsILj256ElfdddEEvlT0_NS_24const_host_device_scalarIT4_EEPKS1_S6_PKT1_PKT2_PT3_PS1_PS3_21rocsparse_index_base_b.private_seg_size, 0
	.set _ZN9rocsparseL22coomvn_segmented_loopsILj256ElfdddEEvlT0_NS_24const_host_device_scalarIT4_EEPKS1_S6_PKT1_PKT2_PT3_PS1_PS3_21rocsparse_index_base_b.uses_vcc, 1
	.set _ZN9rocsparseL22coomvn_segmented_loopsILj256ElfdddEEvlT0_NS_24const_host_device_scalarIT4_EEPKS1_S6_PKT1_PKT2_PT3_PS1_PS3_21rocsparse_index_base_b.uses_flat_scratch, 0
	.set _ZN9rocsparseL22coomvn_segmented_loopsILj256ElfdddEEvlT0_NS_24const_host_device_scalarIT4_EEPKS1_S6_PKT1_PKT2_PT3_PS1_PS3_21rocsparse_index_base_b.has_dyn_sized_stack, 0
	.set _ZN9rocsparseL22coomvn_segmented_loopsILj256ElfdddEEvlT0_NS_24const_host_device_scalarIT4_EEPKS1_S6_PKT1_PKT2_PT3_PS1_PS3_21rocsparse_index_base_b.has_recursion, 0
	.set _ZN9rocsparseL22coomvn_segmented_loopsILj256ElfdddEEvlT0_NS_24const_host_device_scalarIT4_EEPKS1_S6_PKT1_PKT2_PT3_PS1_PS3_21rocsparse_index_base_b.has_indirect_call, 0
	.section	.AMDGPU.csdata,"",@progbits
; Kernel info:
; codeLenInByte = 2876
; TotalNumSgprs: 40
; NumVgprs: 40
; ScratchSize: 0
; MemoryBound: 1
; FloatMode: 240
; IeeeMode: 1
; LDSByteSize: 4096 bytes/workgroup (compile time only)
; SGPRBlocks: 0
; VGPRBlocks: 2
; NumSGPRsForWavesPerEU: 40
; NumVGPRsForWavesPerEU: 40
; NamedBarCnt: 0
; Occupancy: 16
; WaveLimiterHint : 1
; COMPUTE_PGM_RSRC2:SCRATCH_EN: 0
; COMPUTE_PGM_RSRC2:USER_SGPR: 2
; COMPUTE_PGM_RSRC2:TRAP_HANDLER: 0
; COMPUTE_PGM_RSRC2:TGID_X_EN: 1
; COMPUTE_PGM_RSRC2:TGID_Y_EN: 0
; COMPUTE_PGM_RSRC2:TGID_Z_EN: 0
; COMPUTE_PGM_RSRC2:TIDIG_COMP_CNT: 0
	.section	.text._ZN9rocsparseL13coomvt_kernelILj1024ElfdddEEv20rocsparse_operation_lNS_24const_host_device_scalarIT4_EEPKT0_S7_PKT1_PKT2_PT3_21rocsparse_index_base_b,"axG",@progbits,_ZN9rocsparseL13coomvt_kernelILj1024ElfdddEEv20rocsparse_operation_lNS_24const_host_device_scalarIT4_EEPKT0_S7_PKT1_PKT2_PT3_21rocsparse_index_base_b,comdat
	.globl	_ZN9rocsparseL13coomvt_kernelILj1024ElfdddEEv20rocsparse_operation_lNS_24const_host_device_scalarIT4_EEPKT0_S7_PKT1_PKT2_PT3_21rocsparse_index_base_b ; -- Begin function _ZN9rocsparseL13coomvt_kernelILj1024ElfdddEEv20rocsparse_operation_lNS_24const_host_device_scalarIT4_EEPKT0_S7_PKT1_PKT2_PT3_21rocsparse_index_base_b
	.p2align	8
	.type	_ZN9rocsparseL13coomvt_kernelILj1024ElfdddEEv20rocsparse_operation_lNS_24const_host_device_scalarIT4_EEPKT0_S7_PKT1_PKT2_PT3_21rocsparse_index_base_b,@function
_ZN9rocsparseL13coomvt_kernelILj1024ElfdddEEv20rocsparse_operation_lNS_24const_host_device_scalarIT4_EEPKT0_S7_PKT1_PKT2_PT3_21rocsparse_index_base_b: ; @_ZN9rocsparseL13coomvt_kernelILj1024ElfdddEEv20rocsparse_operation_lNS_24const_host_device_scalarIT4_EEPKT0_S7_PKT1_PKT2_PT3_21rocsparse_index_base_b
; %bb.0:
	s_clause 0x1
	s_load_b64 s[2:3], s[0:1], 0x40
	s_load_b128 s[4:7], s[0:1], 0x8
	s_wait_kmcnt 0x0
	s_bitcmp1_b32 s3, 0
	v_mov_b64_e32 v[2:3], s[6:7]
	s_cselect_b32 s3, -1, 0
	s_delay_alu instid0(SALU_CYCLE_1)
	s_and_b32 vcc_lo, exec_lo, s3
	s_cbranch_vccnz .LBB97_2
; %bb.1:
	v_mov_b32_e32 v1, 0
	flat_load_b64 v[2:3], v1, s[6:7]
.LBB97_2:
	s_mov_b32 s3, exec_lo
	s_wait_loadcnt_dscnt 0x0
	s_delay_alu instid0(VALU_DEP_1)
	v_cmpx_neq_f64_e32 0, v[2:3]
	s_cbranch_execz .LBB97_5
; %bb.3:
	s_load_b32 s3, s[0:1], 0x54
	s_bfe_u32 s6, ttmp6, 0x4000c
	s_and_b32 s7, ttmp6, 15
	s_add_co_i32 s6, s6, 1
	s_getreg_b32 s8, hwreg(HW_REG_IB_STS2, 6, 4)
	s_mul_i32 s6, ttmp9, s6
	v_mov_b32_e32 v1, 0
	s_add_co_i32 s7, s7, s6
	s_wait_kmcnt 0x0
	s_and_b32 s3, s3, 0xffff
	s_cmp_eq_u32 s8, 0
	s_cselect_b32 s6, ttmp9, s7
	s_delay_alu instid0(SALU_CYCLE_1) | instskip(SKIP_1) | instid1(VALU_DEP_1)
	v_mad_u32 v0, s6, s3, v0
	s_mov_b32 s3, 0
	v_cmp_gt_i64_e32 vcc_lo, s[4:5], v[0:1]
	s_and_b32 exec_lo, exec_lo, vcc_lo
	s_cbranch_execz .LBB97_5
; %bb.4:
	s_load_b256 s[4:11], s[0:1], 0x18
	v_lshlrev_b64_e32 v[4:5], 3, v[0:1]
	s_wait_xcnt 0x0
	s_load_b64 s[0:1], s[0:1], 0x38
	s_wait_kmcnt 0x0
	s_delay_alu instid0(VALU_DEP_1)
	v_add_nc_u64_e32 v[6:7], s[4:5], v[4:5]
	v_lshl_add_u64 v[0:1], v[0:1], 2, s[8:9]
	v_add_nc_u64_e32 v[4:5], s[6:7], v[4:5]
	global_load_b32 v8, v[0:1], off
	global_load_b64 v[6:7], v[6:7], off
	global_load_b64 v[4:5], v[4:5], off
	s_wait_loadcnt 0x1
	s_wait_xcnt 0x2
	v_sub_nc_u64_e64 v[0:1], v[6:7], s[2:3]
	v_cvt_f64_f32_e32 v[6:7], v8
	s_delay_alu instid0(VALU_DEP_2) | instskip(SKIP_3) | instid1(VALU_DEP_1)
	v_lshl_add_u64 v[0:1], v[0:1], 3, s[10:11]
	global_load_b64 v[0:1], v[0:1], off
	v_mul_f64_e32 v[2:3], v[2:3], v[6:7]
	s_wait_loadcnt 0x0
	v_mul_f64_e32 v[0:1], v[0:1], v[2:3]
	v_sub_nc_u64_e64 v[2:3], v[4:5], s[2:3]
	s_delay_alu instid0(VALU_DEP_1)
	v_lshl_add_u64 v[2:3], v[2:3], 3, s[0:1]
	global_atomic_add_f64 v[2:3], v[0:1], off scope:SCOPE_DEV
.LBB97_5:
	s_endpgm
	.section	.rodata,"a",@progbits
	.p2align	6, 0x0
	.amdhsa_kernel _ZN9rocsparseL13coomvt_kernelILj1024ElfdddEEv20rocsparse_operation_lNS_24const_host_device_scalarIT4_EEPKT0_S7_PKT1_PKT2_PT3_21rocsparse_index_base_b
		.amdhsa_group_segment_fixed_size 0
		.amdhsa_private_segment_fixed_size 0
		.amdhsa_kernarg_size 328
		.amdhsa_user_sgpr_count 2
		.amdhsa_user_sgpr_dispatch_ptr 0
		.amdhsa_user_sgpr_queue_ptr 0
		.amdhsa_user_sgpr_kernarg_segment_ptr 1
		.amdhsa_user_sgpr_dispatch_id 0
		.amdhsa_user_sgpr_kernarg_preload_length 0
		.amdhsa_user_sgpr_kernarg_preload_offset 0
		.amdhsa_user_sgpr_private_segment_size 0
		.amdhsa_wavefront_size32 1
		.amdhsa_uses_dynamic_stack 0
		.amdhsa_enable_private_segment 0
		.amdhsa_system_sgpr_workgroup_id_x 1
		.amdhsa_system_sgpr_workgroup_id_y 0
		.amdhsa_system_sgpr_workgroup_id_z 0
		.amdhsa_system_sgpr_workgroup_info 0
		.amdhsa_system_vgpr_workitem_id 0
		.amdhsa_next_free_vgpr 9
		.amdhsa_next_free_sgpr 12
		.amdhsa_named_barrier_count 0
		.amdhsa_reserve_vcc 1
		.amdhsa_float_round_mode_32 0
		.amdhsa_float_round_mode_16_64 0
		.amdhsa_float_denorm_mode_32 3
		.amdhsa_float_denorm_mode_16_64 3
		.amdhsa_fp16_overflow 0
		.amdhsa_memory_ordered 1
		.amdhsa_forward_progress 1
		.amdhsa_inst_pref_size 3
		.amdhsa_round_robin_scheduling 0
		.amdhsa_exception_fp_ieee_invalid_op 0
		.amdhsa_exception_fp_denorm_src 0
		.amdhsa_exception_fp_ieee_div_zero 0
		.amdhsa_exception_fp_ieee_overflow 0
		.amdhsa_exception_fp_ieee_underflow 0
		.amdhsa_exception_fp_ieee_inexact 0
		.amdhsa_exception_int_div_zero 0
	.end_amdhsa_kernel
	.section	.text._ZN9rocsparseL13coomvt_kernelILj1024ElfdddEEv20rocsparse_operation_lNS_24const_host_device_scalarIT4_EEPKT0_S7_PKT1_PKT2_PT3_21rocsparse_index_base_b,"axG",@progbits,_ZN9rocsparseL13coomvt_kernelILj1024ElfdddEEv20rocsparse_operation_lNS_24const_host_device_scalarIT4_EEPKT0_S7_PKT1_PKT2_PT3_21rocsparse_index_base_b,comdat
.Lfunc_end97:
	.size	_ZN9rocsparseL13coomvt_kernelILj1024ElfdddEEv20rocsparse_operation_lNS_24const_host_device_scalarIT4_EEPKT0_S7_PKT1_PKT2_PT3_21rocsparse_index_base_b, .Lfunc_end97-_ZN9rocsparseL13coomvt_kernelILj1024ElfdddEEv20rocsparse_operation_lNS_24const_host_device_scalarIT4_EEPKT0_S7_PKT1_PKT2_PT3_21rocsparse_index_base_b
                                        ; -- End function
	.set _ZN9rocsparseL13coomvt_kernelILj1024ElfdddEEv20rocsparse_operation_lNS_24const_host_device_scalarIT4_EEPKT0_S7_PKT1_PKT2_PT3_21rocsparse_index_base_b.num_vgpr, 9
	.set _ZN9rocsparseL13coomvt_kernelILj1024ElfdddEEv20rocsparse_operation_lNS_24const_host_device_scalarIT4_EEPKT0_S7_PKT1_PKT2_PT3_21rocsparse_index_base_b.num_agpr, 0
	.set _ZN9rocsparseL13coomvt_kernelILj1024ElfdddEEv20rocsparse_operation_lNS_24const_host_device_scalarIT4_EEPKT0_S7_PKT1_PKT2_PT3_21rocsparse_index_base_b.numbered_sgpr, 12
	.set _ZN9rocsparseL13coomvt_kernelILj1024ElfdddEEv20rocsparse_operation_lNS_24const_host_device_scalarIT4_EEPKT0_S7_PKT1_PKT2_PT3_21rocsparse_index_base_b.num_named_barrier, 0
	.set _ZN9rocsparseL13coomvt_kernelILj1024ElfdddEEv20rocsparse_operation_lNS_24const_host_device_scalarIT4_EEPKT0_S7_PKT1_PKT2_PT3_21rocsparse_index_base_b.private_seg_size, 0
	.set _ZN9rocsparseL13coomvt_kernelILj1024ElfdddEEv20rocsparse_operation_lNS_24const_host_device_scalarIT4_EEPKT0_S7_PKT1_PKT2_PT3_21rocsparse_index_base_b.uses_vcc, 1
	.set _ZN9rocsparseL13coomvt_kernelILj1024ElfdddEEv20rocsparse_operation_lNS_24const_host_device_scalarIT4_EEPKT0_S7_PKT1_PKT2_PT3_21rocsparse_index_base_b.uses_flat_scratch, 0
	.set _ZN9rocsparseL13coomvt_kernelILj1024ElfdddEEv20rocsparse_operation_lNS_24const_host_device_scalarIT4_EEPKT0_S7_PKT1_PKT2_PT3_21rocsparse_index_base_b.has_dyn_sized_stack, 0
	.set _ZN9rocsparseL13coomvt_kernelILj1024ElfdddEEv20rocsparse_operation_lNS_24const_host_device_scalarIT4_EEPKT0_S7_PKT1_PKT2_PT3_21rocsparse_index_base_b.has_recursion, 0
	.set _ZN9rocsparseL13coomvt_kernelILj1024ElfdddEEv20rocsparse_operation_lNS_24const_host_device_scalarIT4_EEPKT0_S7_PKT1_PKT2_PT3_21rocsparse_index_base_b.has_indirect_call, 0
	.section	.AMDGPU.csdata,"",@progbits
; Kernel info:
; codeLenInByte = 348
; TotalNumSgprs: 14
; NumVgprs: 9
; ScratchSize: 0
; MemoryBound: 0
; FloatMode: 240
; IeeeMode: 1
; LDSByteSize: 0 bytes/workgroup (compile time only)
; SGPRBlocks: 0
; VGPRBlocks: 0
; NumSGPRsForWavesPerEU: 14
; NumVGPRsForWavesPerEU: 9
; NamedBarCnt: 0
; Occupancy: 16
; WaveLimiterHint : 1
; COMPUTE_PGM_RSRC2:SCRATCH_EN: 0
; COMPUTE_PGM_RSRC2:USER_SGPR: 2
; COMPUTE_PGM_RSRC2:TRAP_HANDLER: 0
; COMPUTE_PGM_RSRC2:TGID_X_EN: 1
; COMPUTE_PGM_RSRC2:TGID_Y_EN: 0
; COMPUTE_PGM_RSRC2:TGID_Z_EN: 0
; COMPUTE_PGM_RSRC2:TIDIG_COMP_CNT: 0
	.section	.text._ZN9rocsparseL19coomvn_atomic_loopsILj256ELj1ElfdddEEvlNS_24const_host_device_scalarIT5_EEPKT1_S6_PKT2_PKT3_PT4_21rocsparse_index_base_b,"axG",@progbits,_ZN9rocsparseL19coomvn_atomic_loopsILj256ELj1ElfdddEEvlNS_24const_host_device_scalarIT5_EEPKT1_S6_PKT2_PKT3_PT4_21rocsparse_index_base_b,comdat
	.globl	_ZN9rocsparseL19coomvn_atomic_loopsILj256ELj1ElfdddEEvlNS_24const_host_device_scalarIT5_EEPKT1_S6_PKT2_PKT3_PT4_21rocsparse_index_base_b ; -- Begin function _ZN9rocsparseL19coomvn_atomic_loopsILj256ELj1ElfdddEEvlNS_24const_host_device_scalarIT5_EEPKT1_S6_PKT2_PKT3_PT4_21rocsparse_index_base_b
	.p2align	8
	.type	_ZN9rocsparseL19coomvn_atomic_loopsILj256ELj1ElfdddEEvlNS_24const_host_device_scalarIT5_EEPKT1_S6_PKT2_PKT3_PT4_21rocsparse_index_base_b,@function
_ZN9rocsparseL19coomvn_atomic_loopsILj256ELj1ElfdddEEvlNS_24const_host_device_scalarIT5_EEPKT1_S6_PKT2_PKT3_PT4_21rocsparse_index_base_b: ; @_ZN9rocsparseL19coomvn_atomic_loopsILj256ELj1ElfdddEEvlNS_24const_host_device_scalarIT5_EEPKT1_S6_PKT2_PKT3_PT4_21rocsparse_index_base_b
; %bb.0:
	s_clause 0x1
	s_load_b64 s[2:3], s[0:1], 0x38
	s_load_b128 s[4:7], s[0:1], 0x0
	s_wait_kmcnt 0x0
	s_bitcmp1_b32 s3, 0
	v_mov_b64_e32 v[2:3], s[6:7]
	s_cselect_b32 s3, -1, 0
	s_delay_alu instid0(SALU_CYCLE_1)
	s_and_b32 vcc_lo, exec_lo, s3
	s_cbranch_vccnz .LBB98_2
; %bb.1:
	v_mov_b32_e32 v1, 0
	flat_load_b64 v[2:3], v1, s[6:7]
.LBB98_2:
	s_mov_b32 s3, exec_lo
	s_wait_loadcnt_dscnt 0x0
	s_delay_alu instid0(VALU_DEP_1)
	v_cmpx_neq_f64_e32 0, v[2:3]
	s_cbranch_execz .LBB98_42
; %bb.3:
	s_bfe_u32 s3, ttmp6, 0x4000c
	s_and_b32 s6, ttmp6, 15
	s_add_co_i32 s3, s3, 1
	s_getreg_b32 s7, hwreg(HW_REG_IB_STS2, 6, 4)
	s_mul_i32 s3, ttmp9, s3
	v_mov_b32_e32 v9, 0
	s_add_co_i32 s6, s6, s3
	s_cmp_eq_u32 s7, 0
	v_mov_b64_e32 v[4:5], -1
	s_cselect_b32 s3, ttmp9, s6
	v_mov_b64_e32 v[6:7], 0
	v_lshl_or_b32 v8, s3, 8, v0
	s_mov_b32 s3, 0
	s_delay_alu instid0(VALU_DEP_1)
	v_cmp_gt_i64_e32 vcc_lo, s[4:5], v[8:9]
	s_and_saveexec_b32 s4, vcc_lo
	s_cbranch_execz .LBB98_5
; %bb.4:
	s_load_b256 s[8:15], s[0:1], 0x10
	v_lshlrev_b64_e32 v[4:5], 3, v[8:9]
	s_wait_kmcnt 0x0
	s_delay_alu instid0(VALU_DEP_1)
	v_add_nc_u64_e32 v[6:7], s[10:11], v[4:5]
	v_lshl_add_u64 v[8:9], v[8:9], 2, s[12:13]
	v_add_nc_u64_e32 v[4:5], s[8:9], v[4:5]
	global_load_b32 v1, v[8:9], off th:TH_LOAD_NT
	global_load_b64 v[6:7], v[6:7], off th:TH_LOAD_NT
	global_load_b64 v[4:5], v[4:5], off th:TH_LOAD_NT
	s_wait_loadcnt 0x2
	s_wait_xcnt 0x2
	v_cvt_f64_f32_e32 v[8:9], v1
	s_wait_loadcnt 0x1
	s_wait_xcnt 0x1
	v_sub_nc_u64_e64 v[6:7], v[6:7], s[2:3]
	s_wait_loadcnt 0x0
	v_sub_nc_u64_e64 v[4:5], v[4:5], s[2:3]
	s_delay_alu instid0(VALU_DEP_2)
	v_lshl_add_u64 v[6:7], v[6:7], 3, s[14:15]
	global_load_b64 v[6:7], v[6:7], off
	s_wait_loadcnt 0x0
	v_mul_f64_e32 v[6:7], v[6:7], v[8:9]
.LBB98_5:
	s_or_b32 exec_lo, exec_lo, s4
	v_lshlrev_b32_e32 v1, 3, v0
	s_mov_b32 s2, exec_lo
	s_delay_alu instid0(VALU_DEP_1)
	v_or_b32_e32 v8, 0x800, v1
	ds_store_2addr_stride64_b64 v1, v[4:5], v[6:7] offset1:4
	s_wait_dscnt 0x0
	s_barrier_signal -1
	s_barrier_wait -1
	v_cmpx_ne_u32_e32 0, v0
	s_cbranch_execz .LBB98_9
; %bb.6:
	v_add_nc_u32_e32 v9, -8, v1
	s_mov_b32 s3, exec_lo
	ds_load_b64 v[10:11], v9
	s_wait_dscnt 0x0
	v_cmpx_eq_u64_e64 v[4:5], v[10:11]
	s_cbranch_execz .LBB98_8
; %bb.7:
	v_add_nc_u32_e32 v9, -8, v8
	ds_load_b64 v[10:11], v9
	s_wait_dscnt 0x0
	v_add_f64_e32 v[6:7], v[6:7], v[10:11]
.LBB98_8:
	s_or_b32 exec_lo, exec_lo, s3
.LBB98_9:
	s_delay_alu instid0(SALU_CYCLE_1) | instskip(NEXT) | instid1(SALU_CYCLE_1)
	s_or_b32 exec_lo, exec_lo, s2
	s_mov_b32 s2, exec_lo
	s_barrier_signal -1
	s_barrier_wait -1
	ds_store_b64 v8, v[6:7]
	s_wait_dscnt 0x0
	s_barrier_signal -1
	s_barrier_wait -1
	v_cmpx_lt_u32_e32 1, v0
	s_cbranch_execz .LBB98_13
; %bb.10:
	v_add_nc_u32_e32 v9, -16, v1
	s_mov_b32 s3, exec_lo
	ds_load_b64 v[10:11], v9
	s_wait_dscnt 0x0
	v_cmpx_eq_u64_e64 v[4:5], v[10:11]
	s_cbranch_execz .LBB98_12
; %bb.11:
	v_add_nc_u32_e32 v9, -16, v8
	ds_load_b64 v[10:11], v9
	s_wait_dscnt 0x0
	v_add_f64_e32 v[6:7], v[6:7], v[10:11]
.LBB98_12:
	s_or_b32 exec_lo, exec_lo, s3
.LBB98_13:
	s_delay_alu instid0(SALU_CYCLE_1) | instskip(NEXT) | instid1(SALU_CYCLE_1)
	s_or_b32 exec_lo, exec_lo, s2
	s_mov_b32 s2, exec_lo
	s_barrier_signal -1
	s_barrier_wait -1
	ds_store_b64 v8, v[6:7]
	s_wait_dscnt 0x0
	s_barrier_signal -1
	s_barrier_wait -1
	v_cmpx_lt_u32_e32 3, v0
	s_cbranch_execz .LBB98_17
; %bb.14:
	v_subrev_nc_u32_e32 v9, 32, v1
	s_mov_b32 s3, exec_lo
	ds_load_b64 v[10:11], v9
	s_wait_dscnt 0x0
	v_cmpx_eq_u64_e64 v[4:5], v[10:11]
	s_cbranch_execz .LBB98_16
; %bb.15:
	v_subrev_nc_u32_e32 v9, 32, v8
	ds_load_b64 v[10:11], v9
	s_wait_dscnt 0x0
	v_add_f64_e32 v[6:7], v[6:7], v[10:11]
.LBB98_16:
	s_or_b32 exec_lo, exec_lo, s3
.LBB98_17:
	s_delay_alu instid0(SALU_CYCLE_1) | instskip(NEXT) | instid1(SALU_CYCLE_1)
	s_or_b32 exec_lo, exec_lo, s2
	s_mov_b32 s2, exec_lo
	s_barrier_signal -1
	s_barrier_wait -1
	ds_store_b64 v8, v[6:7]
	s_wait_dscnt 0x0
	s_barrier_signal -1
	s_barrier_wait -1
	v_cmpx_lt_u32_e32 7, v0
	s_cbranch_execz .LBB98_21
; %bb.18:
	v_subrev_nc_u32_e32 v9, 64, v1
	s_mov_b32 s3, exec_lo
	ds_load_b64 v[10:11], v9
	s_wait_dscnt 0x0
	v_cmpx_eq_u64_e64 v[4:5], v[10:11]
	s_cbranch_execz .LBB98_20
; %bb.19:
	v_subrev_nc_u32_e32 v9, 64, v8
	ds_load_b64 v[10:11], v9
	s_wait_dscnt 0x0
	v_add_f64_e32 v[6:7], v[6:7], v[10:11]
.LBB98_20:
	s_or_b32 exec_lo, exec_lo, s3
.LBB98_21:
	s_delay_alu instid0(SALU_CYCLE_1) | instskip(NEXT) | instid1(SALU_CYCLE_1)
	s_or_b32 exec_lo, exec_lo, s2
	s_mov_b32 s2, exec_lo
	s_barrier_signal -1
	s_barrier_wait -1
	ds_store_b64 v8, v[6:7]
	s_wait_dscnt 0x0
	s_barrier_signal -1
	s_barrier_wait -1
	v_cmpx_lt_u32_e32 15, v0
	s_cbranch_execz .LBB98_25
; %bb.22:
	v_add_nc_u32_e32 v9, 0xffffff80, v1
	s_mov_b32 s3, exec_lo
	ds_load_b64 v[10:11], v9
	s_wait_dscnt 0x0
	v_cmpx_eq_u64_e64 v[4:5], v[10:11]
	s_cbranch_execz .LBB98_24
; %bb.23:
	v_add_nc_u32_e32 v9, 0xffffff80, v8
	ds_load_b64 v[10:11], v9
	s_wait_dscnt 0x0
	v_add_f64_e32 v[6:7], v[6:7], v[10:11]
.LBB98_24:
	s_or_b32 exec_lo, exec_lo, s3
.LBB98_25:
	s_delay_alu instid0(SALU_CYCLE_1) | instskip(NEXT) | instid1(SALU_CYCLE_1)
	s_or_b32 exec_lo, exec_lo, s2
	s_mov_b32 s2, exec_lo
	s_barrier_signal -1
	s_barrier_wait -1
	ds_store_b64 v8, v[6:7]
	s_wait_dscnt 0x0
	s_barrier_signal -1
	s_barrier_wait -1
	v_cmpx_lt_u32_e32 31, v0
	s_cbranch_execz .LBB98_29
; %bb.26:
	v_add_nc_u32_e32 v9, 0xffffff00, v1
	s_mov_b32 s3, exec_lo
	ds_load_b64 v[10:11], v9
	s_wait_dscnt 0x0
	v_cmpx_eq_u64_e64 v[4:5], v[10:11]
	s_cbranch_execz .LBB98_28
; %bb.27:
	v_add_nc_u32_e32 v9, 0xffffff00, v8
	ds_load_b64 v[10:11], v9
	s_wait_dscnt 0x0
	v_add_f64_e32 v[6:7], v[6:7], v[10:11]
.LBB98_28:
	s_or_b32 exec_lo, exec_lo, s3
.LBB98_29:
	;; [unrolled: 26-line block ×4, first 2 shown]
	s_delay_alu instid0(SALU_CYCLE_1)
	s_or_b32 exec_lo, exec_lo, s2
	s_load_b64 s[2:3], s[0:1], 0x30
	s_wait_xcnt 0x0
	s_mov_b32 s1, exec_lo
	s_barrier_signal -1
	s_barrier_wait -1
	ds_store_b64 v8, v[6:7]
	s_wait_dscnt 0x0
	s_barrier_signal -1
	s_barrier_wait -1
	v_cmpx_gt_u32_e32 0xff, v0
	s_cbranch_execz .LBB98_40
; %bb.38:
	ds_load_b64 v[8:9], v1 offset:8
	v_cmp_lt_i64_e64 s0, -1, v[4:5]
	s_wait_dscnt 0x0
	v_cmp_ne_u64_e32 vcc_lo, v[4:5], v[8:9]
	s_and_b32 s0, s0, vcc_lo
	s_delay_alu instid0(SALU_CYCLE_1)
	s_and_b32 exec_lo, exec_lo, s0
	s_cbranch_execz .LBB98_40
; %bb.39:
	v_mul_f64_e32 v[8:9], v[2:3], v[6:7]
	s_wait_kmcnt 0x0
	v_lshl_add_u64 v[10:11], v[4:5], 3, s[2:3]
	global_atomic_add_f64 v[10:11], v[8:9], off scope:SCOPE_DEV
.LBB98_40:
	s_wait_xcnt 0x0
	s_or_b32 exec_lo, exec_lo, s1
	v_cmp_lt_i64_e32 vcc_lo, -1, v[4:5]
	v_cmp_eq_u32_e64 s0, 0xff, v0
	s_and_b32 s0, s0, vcc_lo
	s_delay_alu instid0(SALU_CYCLE_1)
	s_and_b32 exec_lo, exec_lo, s0
	s_cbranch_execz .LBB98_42
; %bb.41:
	v_mul_f64_e32 v[0:1], v[2:3], v[6:7]
	s_wait_kmcnt 0x0
	v_lshl_add_u64 v[2:3], v[4:5], 3, s[2:3]
	global_atomic_add_f64 v[2:3], v[0:1], off scope:SCOPE_DEV
.LBB98_42:
	s_endpgm
	.section	.rodata,"a",@progbits
	.p2align	6, 0x0
	.amdhsa_kernel _ZN9rocsparseL19coomvn_atomic_loopsILj256ELj1ElfdddEEvlNS_24const_host_device_scalarIT5_EEPKT1_S6_PKT2_PKT3_PT4_21rocsparse_index_base_b
		.amdhsa_group_segment_fixed_size 4096
		.amdhsa_private_segment_fixed_size 0
		.amdhsa_kernarg_size 64
		.amdhsa_user_sgpr_count 2
		.amdhsa_user_sgpr_dispatch_ptr 0
		.amdhsa_user_sgpr_queue_ptr 0
		.amdhsa_user_sgpr_kernarg_segment_ptr 1
		.amdhsa_user_sgpr_dispatch_id 0
		.amdhsa_user_sgpr_kernarg_preload_length 0
		.amdhsa_user_sgpr_kernarg_preload_offset 0
		.amdhsa_user_sgpr_private_segment_size 0
		.amdhsa_wavefront_size32 1
		.amdhsa_uses_dynamic_stack 0
		.amdhsa_enable_private_segment 0
		.amdhsa_system_sgpr_workgroup_id_x 1
		.amdhsa_system_sgpr_workgroup_id_y 0
		.amdhsa_system_sgpr_workgroup_id_z 0
		.amdhsa_system_sgpr_workgroup_info 0
		.amdhsa_system_vgpr_workitem_id 0
		.amdhsa_next_free_vgpr 12
		.amdhsa_next_free_sgpr 16
		.amdhsa_named_barrier_count 0
		.amdhsa_reserve_vcc 1
		.amdhsa_float_round_mode_32 0
		.amdhsa_float_round_mode_16_64 0
		.amdhsa_float_denorm_mode_32 3
		.amdhsa_float_denorm_mode_16_64 3
		.amdhsa_fp16_overflow 0
		.amdhsa_memory_ordered 1
		.amdhsa_forward_progress 1
		.amdhsa_inst_pref_size 11
		.amdhsa_round_robin_scheduling 0
		.amdhsa_exception_fp_ieee_invalid_op 0
		.amdhsa_exception_fp_denorm_src 0
		.amdhsa_exception_fp_ieee_div_zero 0
		.amdhsa_exception_fp_ieee_overflow 0
		.amdhsa_exception_fp_ieee_underflow 0
		.amdhsa_exception_fp_ieee_inexact 0
		.amdhsa_exception_int_div_zero 0
	.end_amdhsa_kernel
	.section	.text._ZN9rocsparseL19coomvn_atomic_loopsILj256ELj1ElfdddEEvlNS_24const_host_device_scalarIT5_EEPKT1_S6_PKT2_PKT3_PT4_21rocsparse_index_base_b,"axG",@progbits,_ZN9rocsparseL19coomvn_atomic_loopsILj256ELj1ElfdddEEvlNS_24const_host_device_scalarIT5_EEPKT1_S6_PKT2_PKT3_PT4_21rocsparse_index_base_b,comdat
.Lfunc_end98:
	.size	_ZN9rocsparseL19coomvn_atomic_loopsILj256ELj1ElfdddEEvlNS_24const_host_device_scalarIT5_EEPKT1_S6_PKT2_PKT3_PT4_21rocsparse_index_base_b, .Lfunc_end98-_ZN9rocsparseL19coomvn_atomic_loopsILj256ELj1ElfdddEEvlNS_24const_host_device_scalarIT5_EEPKT1_S6_PKT2_PKT3_PT4_21rocsparse_index_base_b
                                        ; -- End function
	.set _ZN9rocsparseL19coomvn_atomic_loopsILj256ELj1ElfdddEEvlNS_24const_host_device_scalarIT5_EEPKT1_S6_PKT2_PKT3_PT4_21rocsparse_index_base_b.num_vgpr, 12
	.set _ZN9rocsparseL19coomvn_atomic_loopsILj256ELj1ElfdddEEvlNS_24const_host_device_scalarIT5_EEPKT1_S6_PKT2_PKT3_PT4_21rocsparse_index_base_b.num_agpr, 0
	.set _ZN9rocsparseL19coomvn_atomic_loopsILj256ELj1ElfdddEEvlNS_24const_host_device_scalarIT5_EEPKT1_S6_PKT2_PKT3_PT4_21rocsparse_index_base_b.numbered_sgpr, 16
	.set _ZN9rocsparseL19coomvn_atomic_loopsILj256ELj1ElfdddEEvlNS_24const_host_device_scalarIT5_EEPKT1_S6_PKT2_PKT3_PT4_21rocsparse_index_base_b.num_named_barrier, 0
	.set _ZN9rocsparseL19coomvn_atomic_loopsILj256ELj1ElfdddEEvlNS_24const_host_device_scalarIT5_EEPKT1_S6_PKT2_PKT3_PT4_21rocsparse_index_base_b.private_seg_size, 0
	.set _ZN9rocsparseL19coomvn_atomic_loopsILj256ELj1ElfdddEEvlNS_24const_host_device_scalarIT5_EEPKT1_S6_PKT2_PKT3_PT4_21rocsparse_index_base_b.uses_vcc, 1
	.set _ZN9rocsparseL19coomvn_atomic_loopsILj256ELj1ElfdddEEvlNS_24const_host_device_scalarIT5_EEPKT1_S6_PKT2_PKT3_PT4_21rocsparse_index_base_b.uses_flat_scratch, 0
	.set _ZN9rocsparseL19coomvn_atomic_loopsILj256ELj1ElfdddEEvlNS_24const_host_device_scalarIT5_EEPKT1_S6_PKT2_PKT3_PT4_21rocsparse_index_base_b.has_dyn_sized_stack, 0
	.set _ZN9rocsparseL19coomvn_atomic_loopsILj256ELj1ElfdddEEvlNS_24const_host_device_scalarIT5_EEPKT1_S6_PKT2_PKT3_PT4_21rocsparse_index_base_b.has_recursion, 0
	.set _ZN9rocsparseL19coomvn_atomic_loopsILj256ELj1ElfdddEEvlNS_24const_host_device_scalarIT5_EEPKT1_S6_PKT2_PKT3_PT4_21rocsparse_index_base_b.has_indirect_call, 0
	.section	.AMDGPU.csdata,"",@progbits
; Kernel info:
; codeLenInByte = 1380
; TotalNumSgprs: 18
; NumVgprs: 12
; ScratchSize: 0
; MemoryBound: 0
; FloatMode: 240
; IeeeMode: 1
; LDSByteSize: 4096 bytes/workgroup (compile time only)
; SGPRBlocks: 0
; VGPRBlocks: 0
; NumSGPRsForWavesPerEU: 18
; NumVGPRsForWavesPerEU: 12
; NamedBarCnt: 0
; Occupancy: 16
; WaveLimiterHint : 1
; COMPUTE_PGM_RSRC2:SCRATCH_EN: 0
; COMPUTE_PGM_RSRC2:USER_SGPR: 2
; COMPUTE_PGM_RSRC2:TRAP_HANDLER: 0
; COMPUTE_PGM_RSRC2:TGID_X_EN: 1
; COMPUTE_PGM_RSRC2:TGID_Y_EN: 0
; COMPUTE_PGM_RSRC2:TGID_Z_EN: 0
; COMPUTE_PGM_RSRC2:TIDIG_COMP_CNT: 0
	.section	.text._ZN9rocsparseL19coomvn_atomic_loopsILj256ELj2ElfdddEEvlNS_24const_host_device_scalarIT5_EEPKT1_S6_PKT2_PKT3_PT4_21rocsparse_index_base_b,"axG",@progbits,_ZN9rocsparseL19coomvn_atomic_loopsILj256ELj2ElfdddEEvlNS_24const_host_device_scalarIT5_EEPKT1_S6_PKT2_PKT3_PT4_21rocsparse_index_base_b,comdat
	.globl	_ZN9rocsparseL19coomvn_atomic_loopsILj256ELj2ElfdddEEvlNS_24const_host_device_scalarIT5_EEPKT1_S6_PKT2_PKT3_PT4_21rocsparse_index_base_b ; -- Begin function _ZN9rocsparseL19coomvn_atomic_loopsILj256ELj2ElfdddEEvlNS_24const_host_device_scalarIT5_EEPKT1_S6_PKT2_PKT3_PT4_21rocsparse_index_base_b
	.p2align	8
	.type	_ZN9rocsparseL19coomvn_atomic_loopsILj256ELj2ElfdddEEvlNS_24const_host_device_scalarIT5_EEPKT1_S6_PKT2_PKT3_PT4_21rocsparse_index_base_b,@function
_ZN9rocsparseL19coomvn_atomic_loopsILj256ELj2ElfdddEEvlNS_24const_host_device_scalarIT5_EEPKT1_S6_PKT2_PKT3_PT4_21rocsparse_index_base_b: ; @_ZN9rocsparseL19coomvn_atomic_loopsILj256ELj2ElfdddEEvlNS_24const_host_device_scalarIT5_EEPKT1_S6_PKT2_PKT3_PT4_21rocsparse_index_base_b
; %bb.0:
	s_clause 0x1
	s_load_b64 s[24:25], s[0:1], 0x38
	s_load_b128 s[20:23], s[0:1], 0x0
	s_wait_kmcnt 0x0
	s_bitcmp1_b32 s25, 0
	v_mov_b64_e32 v[2:3], s[22:23]
	s_cselect_b32 s2, -1, 0
	s_delay_alu instid0(SALU_CYCLE_1)
	s_and_b32 vcc_lo, exec_lo, s2
	s_cbranch_vccnz .LBB99_2
; %bb.1:
	v_mov_b32_e32 v1, 0
	flat_load_b64 v[2:3], v1, s[22:23]
.LBB99_2:
	s_mov_b32 s2, exec_lo
	s_wait_loadcnt_dscnt 0x0
	s_delay_alu instid0(VALU_DEP_1)
	v_cmpx_neq_f64_e32 0, v[2:3]
	s_cbranch_execz .LBB99_90
; %bb.3:
	s_load_b256 s[12:19], s[0:1], 0x10
	s_bfe_u32 s2, ttmp6, 0x4000c
	s_and_b32 s3, ttmp6, 15
	s_add_co_i32 s2, s2, 1
	s_getreg_b32 s4, hwreg(HW_REG_IB_STS2, 6, 4)
	s_mul_i32 s2, ttmp9, s2
	v_mov_b32_e32 v9, 0
	s_add_co_i32 s3, s3, s2
	s_cmp_eq_u32 s4, 0
	v_mov_b64_e32 v[10:11], -1
	s_cselect_b32 s2, ttmp9, s3
	v_mov_b64_e32 v[12:13], 0
	v_lshl_or_b32 v8, s2, 9, v0
	s_mov_b32 s25, 0
	s_mov_b32 s2, exec_lo
	s_delay_alu instid0(VALU_DEP_1)
	v_lshlrev_b64_e32 v[4:5], 3, v[8:9]
	s_wait_kmcnt 0x0
	v_lshl_add_u64 v[6:7], v[8:9], 2, s[16:17]
	v_cmpx_gt_i64_e64 s[20:21], v[8:9]
	s_cbranch_execz .LBB99_5
; %bb.4:
	s_delay_alu instid0(VALU_DEP_3)
	v_add_nc_u64_e32 v[10:11], s[14:15], v[4:5]
	global_load_b64 v[12:13], v[10:11], off th:TH_LOAD_NT
	global_load_b32 v1, v[6:7], off th:TH_LOAD_NT
	s_wait_loadcnt 0x1
	s_wait_xcnt 0x1
	v_sub_nc_u64_e64 v[10:11], v[12:13], s[24:25]
	v_add_nc_u64_e32 v[12:13], s[12:13], v[4:5]
	s_delay_alu instid0(VALU_DEP_2)
	v_lshl_add_u64 v[10:11], v[10:11], 3, s[18:19]
	global_load_b64 v[14:15], v[12:13], off th:TH_LOAD_NT
	s_wait_loadcnt 0x1
	s_wait_xcnt 0x0
	v_cvt_f64_f32_e32 v[12:13], v1
	global_load_b64 v[10:11], v[10:11], off
	s_wait_loadcnt 0x0
	v_mul_f64_e32 v[12:13], v[10:11], v[12:13]
	v_sub_nc_u64_e64 v[10:11], v[14:15], s[24:25]
.LBB99_5:
	s_or_b32 exec_lo, exec_lo, s2
	v_lshlrev_b32_e32 v1, 3, v0
	v_cmp_ne_u32_e64 s2, 0, v0
	v_cmp_eq_u32_e32 vcc_lo, 0, v0
	s_delay_alu instid0(VALU_DEP_3)
	v_or_b32_e32 v14, 0x800, v1
	v_add_nc_u32_e32 v15, -8, v1
	ds_store_2addr_stride64_b64 v1, v[10:11], v[12:13] offset1:4
	s_wait_dscnt 0x0
	s_barrier_signal -1
	s_barrier_wait -1
	s_and_saveexec_b32 s4, s2
	s_cbranch_execz .LBB99_9
; %bb.6:
	ds_load_b64 v[16:17], v15
	s_mov_b32 s5, exec_lo
	s_wait_dscnt 0x0
	v_cmpx_eq_u64_e64 v[10:11], v[16:17]
	s_cbranch_execz .LBB99_8
; %bb.7:
	v_add_nc_u32_e32 v16, -8, v14
	ds_load_b64 v[16:17], v16
	s_wait_dscnt 0x0
	v_add_f64_e32 v[12:13], v[12:13], v[16:17]
.LBB99_8:
	s_or_b32 exec_lo, exec_lo, s5
.LBB99_9:
	s_delay_alu instid0(SALU_CYCLE_1)
	s_or_b32 exec_lo, exec_lo, s4
	v_cmp_lt_u32_e64 s3, 1, v0
	v_add_nc_u32_e32 v16, -16, v1
	s_barrier_signal -1
	s_barrier_wait -1
	ds_store_b64 v14, v[12:13]
	s_wait_dscnt 0x0
	s_barrier_signal -1
	s_barrier_wait -1
	s_and_saveexec_b32 s5, s3
	s_cbranch_execz .LBB99_13
; %bb.10:
	ds_load_b64 v[18:19], v16
	s_mov_b32 s6, exec_lo
	s_wait_dscnt 0x0
	v_cmpx_eq_u64_e64 v[10:11], v[18:19]
	s_cbranch_execz .LBB99_12
; %bb.11:
	v_add_nc_u32_e32 v17, -16, v14
	ds_load_b64 v[18:19], v17
	s_wait_dscnt 0x0
	v_add_f64_e32 v[12:13], v[12:13], v[18:19]
.LBB99_12:
	s_or_b32 exec_lo, exec_lo, s6
.LBB99_13:
	s_delay_alu instid0(SALU_CYCLE_1)
	s_or_b32 exec_lo, exec_lo, s5
	v_cmp_lt_u32_e64 s4, 3, v0
	v_subrev_nc_u32_e32 v17, 32, v1
	s_barrier_signal -1
	s_barrier_wait -1
	ds_store_b64 v14, v[12:13]
	s_wait_dscnt 0x0
	s_barrier_signal -1
	s_barrier_wait -1
	s_and_saveexec_b32 s6, s4
	s_cbranch_execz .LBB99_17
; %bb.14:
	ds_load_b64 v[18:19], v17
	s_mov_b32 s7, exec_lo
	s_wait_dscnt 0x0
	v_cmpx_eq_u64_e64 v[10:11], v[18:19]
	s_cbranch_execz .LBB99_16
; %bb.15:
	v_subrev_nc_u32_e32 v18, 32, v14
	ds_load_b64 v[18:19], v18
	s_wait_dscnt 0x0
	v_add_f64_e32 v[12:13], v[12:13], v[18:19]
.LBB99_16:
	s_or_b32 exec_lo, exec_lo, s7
.LBB99_17:
	s_delay_alu instid0(SALU_CYCLE_1)
	s_or_b32 exec_lo, exec_lo, s6
	v_cmp_lt_u32_e64 s5, 7, v0
	v_subrev_nc_u32_e32 v18, 64, v1
	s_barrier_signal -1
	s_barrier_wait -1
	ds_store_b64 v14, v[12:13]
	s_wait_dscnt 0x0
	s_barrier_signal -1
	s_barrier_wait -1
	s_and_saveexec_b32 s7, s5
	s_cbranch_execz .LBB99_21
; %bb.18:
	ds_load_b64 v[20:21], v18
	s_mov_b32 s8, exec_lo
	s_wait_dscnt 0x0
	v_cmpx_eq_u64_e64 v[10:11], v[20:21]
	s_cbranch_execz .LBB99_20
; %bb.19:
	v_subrev_nc_u32_e32 v19, 64, v14
	ds_load_b64 v[20:21], v19
	s_wait_dscnt 0x0
	v_add_f64_e32 v[12:13], v[12:13], v[20:21]
.LBB99_20:
	s_or_b32 exec_lo, exec_lo, s8
.LBB99_21:
	s_delay_alu instid0(SALU_CYCLE_1)
	s_or_b32 exec_lo, exec_lo, s7
	v_cmp_lt_u32_e64 s6, 15, v0
	v_add_nc_u32_e32 v19, 0xffffff80, v1
	s_barrier_signal -1
	s_barrier_wait -1
	ds_store_b64 v14, v[12:13]
	s_wait_dscnt 0x0
	s_barrier_signal -1
	s_barrier_wait -1
	s_and_saveexec_b32 s8, s6
	s_cbranch_execz .LBB99_25
; %bb.22:
	ds_load_b64 v[20:21], v19
	s_mov_b32 s9, exec_lo
	s_wait_dscnt 0x0
	v_cmpx_eq_u64_e64 v[10:11], v[20:21]
	s_cbranch_execz .LBB99_24
; %bb.23:
	v_add_nc_u32_e32 v20, 0xffffff80, v14
	ds_load_b64 v[20:21], v20
	s_wait_dscnt 0x0
	v_add_f64_e32 v[12:13], v[12:13], v[20:21]
.LBB99_24:
	s_or_b32 exec_lo, exec_lo, s9
.LBB99_25:
	s_delay_alu instid0(SALU_CYCLE_1)
	s_or_b32 exec_lo, exec_lo, s8
	v_cmp_lt_u32_e64 s7, 31, v0
	v_add_nc_u32_e32 v20, 0xffffff00, v1
	s_barrier_signal -1
	s_barrier_wait -1
	ds_store_b64 v14, v[12:13]
	s_wait_dscnt 0x0
	s_barrier_signal -1
	s_barrier_wait -1
	s_and_saveexec_b32 s9, s7
	s_cbranch_execz .LBB99_29
; %bb.26:
	ds_load_b64 v[22:23], v20
	s_mov_b32 s10, exec_lo
	s_wait_dscnt 0x0
	v_cmpx_eq_u64_e64 v[10:11], v[22:23]
	s_cbranch_execz .LBB99_28
; %bb.27:
	v_add_nc_u32_e32 v21, 0xffffff00, v14
	ds_load_b64 v[22:23], v21
	s_wait_dscnt 0x0
	v_add_f64_e32 v[12:13], v[12:13], v[22:23]
.LBB99_28:
	s_or_b32 exec_lo, exec_lo, s10
.LBB99_29:
	;; [unrolled: 26-line block ×4, first 2 shown]
	s_delay_alu instid0(SALU_CYCLE_1)
	s_or_b32 exec_lo, exec_lo, s11
	s_load_b64 s[16:17], s[0:1], 0x30
	s_wait_xcnt 0x0
	v_cmp_gt_u32_e64 s0, 0xff, v0
	s_barrier_signal -1
	s_barrier_wait -1
	ds_store_b64 v14, v[12:13]
	s_wait_dscnt 0x0
	s_barrier_signal -1
	s_barrier_wait -1
	s_and_saveexec_b32 s11, s0
	s_cbranch_execz .LBB99_40
; %bb.38:
	ds_load_b64 v[24:25], v1 offset:8
	v_cmp_lt_i64_e64 s10, -1, v[10:11]
	s_wait_dscnt 0x0
	v_cmp_ne_u64_e64 s1, v[10:11], v[24:25]
	s_and_b32 s1, s10, s1
	s_delay_alu instid0(SALU_CYCLE_1)
	s_and_b32 exec_lo, exec_lo, s1
	s_cbranch_execz .LBB99_40
; %bb.39:
	v_mul_f64_e32 v[12:13], v[2:3], v[12:13]
	s_wait_kmcnt 0x0
	v_lshl_add_u64 v[10:11], v[10:11], 3, s[16:17]
	global_atomic_add_f64 v[10:11], v[12:13], off scope:SCOPE_DEV
.LBB99_40:
	s_wait_xcnt 0x0
	s_or_b32 exec_lo, exec_lo, s11
	v_add_nc_u64_e32 v[10:11], 0x100, v[8:9]
	v_mov_b64_e32 v[8:9], -1
	s_delay_alu instid0(VALU_DEP_2)
	v_cmp_gt_i64_e64 s1, s[20:21], v[10:11]
	v_mov_b64_e32 v[10:11], 0
	s_and_saveexec_b32 s10, s1
	s_cbranch_execz .LBB99_42
; %bb.41:
	v_add_nc_u64_e32 v[8:9], s[14:15], v[4:5]
	v_add_nc_u64_e32 v[4:5], s[12:13], v[4:5]
	global_load_b64 v[10:11], v[8:9], off offset:2048 th:TH_LOAD_NT
	global_load_b32 v12, v[6:7], off offset:1024 th:TH_LOAD_NT
	global_load_b64 v[4:5], v[4:5], off offset:2048 th:TH_LOAD_NT
	s_wait_loadcnt 0x2
	s_wait_xcnt 0x1
	v_sub_nc_u64_e64 v[6:7], v[10:11], s[24:25]
	s_wait_loadcnt 0x1
	v_cvt_f64_f32_e32 v[8:9], v12
	s_delay_alu instid0(VALU_DEP_2)
	v_lshl_add_u64 v[6:7], v[6:7], 3, s[18:19]
	global_load_b64 v[6:7], v[6:7], off
	s_wait_loadcnt 0x0
	v_mul_f64_e32 v[10:11], v[6:7], v[8:9]
	v_sub_nc_u64_e64 v[8:9], v[4:5], s[24:25]
.LBB99_42:
	s_wait_xcnt 0x0
	s_or_b32 exec_lo, exec_lo, s10
	s_and_saveexec_b32 s1, vcc_lo
	s_cbranch_execz .LBB99_53
; %bb.43:
	v_mov_b32_e32 v4, 0
	s_mov_b32 s10, exec_lo
	ds_load_b64 v[4:5], v4 offset:2040
	s_wait_dscnt 0x0
	v_cmpx_ne_u64_e64 v[8:9], v[4:5]
	s_xor_b32 s10, exec_lo, s10
	s_cbranch_execz .LBB99_50
; %bb.44:
	v_cmp_gt_i64_e32 vcc_lo, 0, v[4:5]
	s_cbranch_vccnz .LBB99_50
; %bb.45:
	v_mov_b32_e32 v6, 0
	s_mov_b32 s11, exec_lo
	ds_load_b64 v[6:7], v6 offset:4088
	s_wait_dscnt 0x0
	v_mul_f64_e32 v[12:13], v[2:3], v[6:7]
	v_mov_b64_e32 v[6:7], 0x8000000000000000
.LBB99_46:                              ; =>This Inner Loop Header: Depth=1
	s_ctz_i32_b32 s14, s11
	s_delay_alu instid0(VALU_DEP_2) | instid1(SALU_CYCLE_1)
	v_readlane_b32 s13, v13, s14
	s_delay_alu instid0(VALU_DEP_3) | instskip(NEXT) | instid1(VALU_DEP_1)
	v_readlane_b32 s12, v12, s14
	v_add_f64_e32 v[6:7], s[12:13], v[6:7]
	s_lshl_b32 s12, 1, s14
	s_delay_alu instid0(SALU_CYCLE_1) | instskip(NEXT) | instid1(SALU_CYCLE_1)
	s_and_not1_b32 s11, s11, s12
	s_cmp_lg_u32 s11, 0
	s_cbranch_scc1 .LBB99_46
; %bb.47:
	v_mbcnt_lo_u32_b32 v12, exec_lo, 0
	s_mov_b32 s11, exec_lo
	s_delay_alu instid0(VALU_DEP_1)
	v_cmpx_eq_u32_e32 0, v12
	s_xor_b32 s11, exec_lo, s11
	s_cbranch_execz .LBB99_49
; %bb.48:
	v_lshlrev_b64_e32 v[4:5], 3, v[4:5]
	s_wait_kmcnt 0x0
	s_delay_alu instid0(VALU_DEP_1)
	v_add_nc_u64_e32 v[4:5], s[16:17], v[4:5]
	global_atomic_add_f64 v[4:5], v[6:7], off scope:SCOPE_DEV
.LBB99_49:
	s_wait_xcnt 0x0
	s_or_b32 exec_lo, exec_lo, s11
.LBB99_50:
	s_and_not1_saveexec_b32 s10, s10
	s_cbranch_execz .LBB99_52
; %bb.51:
	v_mov_b32_e32 v4, 0
	ds_load_b64 v[4:5], v4 offset:4088
	s_wait_dscnt 0x0
	v_add_f64_e32 v[10:11], v[10:11], v[4:5]
.LBB99_52:
	s_or_b32 exec_lo, exec_lo, s10
.LBB99_53:
	s_delay_alu instid0(SALU_CYCLE_1)
	s_or_b32 exec_lo, exec_lo, s1
	s_wait_storecnt 0x0
	s_barrier_signal -1
	s_barrier_wait -1
	ds_store_b64 v1, v[8:9]
	ds_store_b64 v14, v[10:11]
	s_wait_dscnt 0x0
	s_barrier_signal -1
	s_barrier_wait -1
	s_and_saveexec_b32 s1, s2
	s_cbranch_execz .LBB99_57
; %bb.54:
	ds_load_b64 v[4:5], v15
	s_mov_b32 s2, exec_lo
	s_wait_dscnt 0x0
	v_cmpx_eq_u64_e64 v[8:9], v[4:5]
	s_cbranch_execz .LBB99_56
; %bb.55:
	v_add_nc_u32_e32 v4, -8, v14
	ds_load_b64 v[4:5], v4
	s_wait_dscnt 0x0
	v_add_f64_e32 v[10:11], v[10:11], v[4:5]
.LBB99_56:
	s_or_b32 exec_lo, exec_lo, s2
.LBB99_57:
	s_delay_alu instid0(SALU_CYCLE_1)
	s_or_b32 exec_lo, exec_lo, s1
	s_barrier_signal -1
	s_barrier_wait -1
	ds_store_b64 v14, v[10:11]
	s_wait_dscnt 0x0
	s_barrier_signal -1
	s_barrier_wait -1
	s_and_saveexec_b32 s1, s3
	s_cbranch_execz .LBB99_61
; %bb.58:
	ds_load_b64 v[4:5], v16
	s_mov_b32 s2, exec_lo
	s_wait_dscnt 0x0
	v_cmpx_eq_u64_e64 v[8:9], v[4:5]
	s_cbranch_execz .LBB99_60
; %bb.59:
	v_add_nc_u32_e32 v4, -16, v14
	ds_load_b64 v[4:5], v4
	s_wait_dscnt 0x0
	v_add_f64_e32 v[10:11], v[10:11], v[4:5]
.LBB99_60:
	s_or_b32 exec_lo, exec_lo, s2
.LBB99_61:
	s_delay_alu instid0(SALU_CYCLE_1)
	s_or_b32 exec_lo, exec_lo, s1
	s_barrier_signal -1
	s_barrier_wait -1
	ds_store_b64 v14, v[10:11]
	s_wait_dscnt 0x0
	s_barrier_signal -1
	s_barrier_wait -1
	s_and_saveexec_b32 s1, s4
	s_cbranch_execz .LBB99_65
; %bb.62:
	ds_load_b64 v[4:5], v17
	s_mov_b32 s2, exec_lo
	s_wait_dscnt 0x0
	v_cmpx_eq_u64_e64 v[8:9], v[4:5]
	s_cbranch_execz .LBB99_64
; %bb.63:
	v_subrev_nc_u32_e32 v4, 32, v14
	ds_load_b64 v[4:5], v4
	s_wait_dscnt 0x0
	v_add_f64_e32 v[10:11], v[10:11], v[4:5]
.LBB99_64:
	s_or_b32 exec_lo, exec_lo, s2
.LBB99_65:
	s_delay_alu instid0(SALU_CYCLE_1)
	s_or_b32 exec_lo, exec_lo, s1
	s_barrier_signal -1
	s_barrier_wait -1
	ds_store_b64 v14, v[10:11]
	s_wait_dscnt 0x0
	s_barrier_signal -1
	s_barrier_wait -1
	s_and_saveexec_b32 s1, s5
	s_cbranch_execz .LBB99_69
; %bb.66:
	ds_load_b64 v[4:5], v18
	s_mov_b32 s2, exec_lo
	s_wait_dscnt 0x0
	v_cmpx_eq_u64_e64 v[8:9], v[4:5]
	s_cbranch_execz .LBB99_68
; %bb.67:
	v_subrev_nc_u32_e32 v4, 64, v14
	ds_load_b64 v[4:5], v4
	s_wait_dscnt 0x0
	v_add_f64_e32 v[10:11], v[10:11], v[4:5]
.LBB99_68:
	s_or_b32 exec_lo, exec_lo, s2
.LBB99_69:
	s_delay_alu instid0(SALU_CYCLE_1)
	s_or_b32 exec_lo, exec_lo, s1
	s_barrier_signal -1
	s_barrier_wait -1
	ds_store_b64 v14, v[10:11]
	s_wait_dscnt 0x0
	s_barrier_signal -1
	s_barrier_wait -1
	s_and_saveexec_b32 s1, s6
	s_cbranch_execz .LBB99_73
; %bb.70:
	ds_load_b64 v[4:5], v19
	s_mov_b32 s2, exec_lo
	s_wait_dscnt 0x0
	v_cmpx_eq_u64_e64 v[8:9], v[4:5]
	s_cbranch_execz .LBB99_72
; %bb.71:
	v_add_nc_u32_e32 v4, 0xffffff80, v14
	ds_load_b64 v[4:5], v4
	s_wait_dscnt 0x0
	v_add_f64_e32 v[10:11], v[10:11], v[4:5]
.LBB99_72:
	s_or_b32 exec_lo, exec_lo, s2
.LBB99_73:
	s_delay_alu instid0(SALU_CYCLE_1)
	s_or_b32 exec_lo, exec_lo, s1
	s_barrier_signal -1
	s_barrier_wait -1
	ds_store_b64 v14, v[10:11]
	s_wait_dscnt 0x0
	s_barrier_signal -1
	s_barrier_wait -1
	s_and_saveexec_b32 s1, s7
	s_cbranch_execz .LBB99_77
; %bb.74:
	ds_load_b64 v[4:5], v20
	s_mov_b32 s2, exec_lo
	s_wait_dscnt 0x0
	v_cmpx_eq_u64_e64 v[8:9], v[4:5]
	s_cbranch_execz .LBB99_76
; %bb.75:
	v_add_nc_u32_e32 v4, 0xffffff00, v14
	ds_load_b64 v[4:5], v4
	s_wait_dscnt 0x0
	v_add_f64_e32 v[10:11], v[10:11], v[4:5]
.LBB99_76:
	s_or_b32 exec_lo, exec_lo, s2
.LBB99_77:
	;; [unrolled: 24-line block ×4, first 2 shown]
	s_delay_alu instid0(SALU_CYCLE_1)
	s_or_b32 exec_lo, exec_lo, s1
	s_barrier_signal -1
	s_barrier_wait -1
	ds_store_b64 v14, v[10:11]
	s_wait_dscnt 0x0
	s_barrier_signal -1
	s_barrier_wait -1
	s_and_saveexec_b32 s1, s0
	s_cbranch_execz .LBB99_88
; %bb.86:
	ds_load_b64 v[4:5], v1 offset:8
	v_cmp_lt_i64_e64 s0, -1, v[8:9]
	s_wait_dscnt 0x0
	v_cmp_ne_u64_e32 vcc_lo, v[8:9], v[4:5]
	s_and_b32 s0, s0, vcc_lo
	s_delay_alu instid0(SALU_CYCLE_1)
	s_and_b32 exec_lo, exec_lo, s0
	s_cbranch_execz .LBB99_88
; %bb.87:
	v_mul_f64_e32 v[4:5], v[2:3], v[10:11]
	s_wait_kmcnt 0x0
	v_lshl_add_u64 v[6:7], v[8:9], 3, s[16:17]
	global_atomic_add_f64 v[6:7], v[4:5], off scope:SCOPE_DEV
.LBB99_88:
	s_wait_xcnt 0x0
	s_or_b32 exec_lo, exec_lo, s1
	v_cmp_lt_i64_e32 vcc_lo, -1, v[8:9]
	v_cmp_eq_u32_e64 s0, 0xff, v0
	s_and_b32 s0, s0, vcc_lo
	s_delay_alu instid0(SALU_CYCLE_1)
	s_and_b32 exec_lo, exec_lo, s0
	s_cbranch_execz .LBB99_90
; %bb.89:
	v_mul_f64_e32 v[0:1], v[2:3], v[10:11]
	s_wait_kmcnt 0x0
	v_lshl_add_u64 v[2:3], v[8:9], 3, s[16:17]
	global_atomic_add_f64 v[2:3], v[0:1], off scope:SCOPE_DEV
.LBB99_90:
	s_endpgm
	.section	.rodata,"a",@progbits
	.p2align	6, 0x0
	.amdhsa_kernel _ZN9rocsparseL19coomvn_atomic_loopsILj256ELj2ElfdddEEvlNS_24const_host_device_scalarIT5_EEPKT1_S6_PKT2_PKT3_PT4_21rocsparse_index_base_b
		.amdhsa_group_segment_fixed_size 4096
		.amdhsa_private_segment_fixed_size 0
		.amdhsa_kernarg_size 64
		.amdhsa_user_sgpr_count 2
		.amdhsa_user_sgpr_dispatch_ptr 0
		.amdhsa_user_sgpr_queue_ptr 0
		.amdhsa_user_sgpr_kernarg_segment_ptr 1
		.amdhsa_user_sgpr_dispatch_id 0
		.amdhsa_user_sgpr_kernarg_preload_length 0
		.amdhsa_user_sgpr_kernarg_preload_offset 0
		.amdhsa_user_sgpr_private_segment_size 0
		.amdhsa_wavefront_size32 1
		.amdhsa_uses_dynamic_stack 0
		.amdhsa_enable_private_segment 0
		.amdhsa_system_sgpr_workgroup_id_x 1
		.amdhsa_system_sgpr_workgroup_id_y 0
		.amdhsa_system_sgpr_workgroup_id_z 0
		.amdhsa_system_sgpr_workgroup_info 0
		.amdhsa_system_vgpr_workitem_id 0
		.amdhsa_next_free_vgpr 26
		.amdhsa_next_free_sgpr 26
		.amdhsa_named_barrier_count 0
		.amdhsa_reserve_vcc 1
		.amdhsa_float_round_mode_32 0
		.amdhsa_float_round_mode_16_64 0
		.amdhsa_float_denorm_mode_32 3
		.amdhsa_float_denorm_mode_16_64 3
		.amdhsa_fp16_overflow 0
		.amdhsa_memory_ordered 1
		.amdhsa_forward_progress 1
		.amdhsa_inst_pref_size 22
		.amdhsa_round_robin_scheduling 0
		.amdhsa_exception_fp_ieee_invalid_op 0
		.amdhsa_exception_fp_denorm_src 0
		.amdhsa_exception_fp_ieee_div_zero 0
		.amdhsa_exception_fp_ieee_overflow 0
		.amdhsa_exception_fp_ieee_underflow 0
		.amdhsa_exception_fp_ieee_inexact 0
		.amdhsa_exception_int_div_zero 0
	.end_amdhsa_kernel
	.section	.text._ZN9rocsparseL19coomvn_atomic_loopsILj256ELj2ElfdddEEvlNS_24const_host_device_scalarIT5_EEPKT1_S6_PKT2_PKT3_PT4_21rocsparse_index_base_b,"axG",@progbits,_ZN9rocsparseL19coomvn_atomic_loopsILj256ELj2ElfdddEEvlNS_24const_host_device_scalarIT5_EEPKT1_S6_PKT2_PKT3_PT4_21rocsparse_index_base_b,comdat
.Lfunc_end99:
	.size	_ZN9rocsparseL19coomvn_atomic_loopsILj256ELj2ElfdddEEvlNS_24const_host_device_scalarIT5_EEPKT1_S6_PKT2_PKT3_PT4_21rocsparse_index_base_b, .Lfunc_end99-_ZN9rocsparseL19coomvn_atomic_loopsILj256ELj2ElfdddEEvlNS_24const_host_device_scalarIT5_EEPKT1_S6_PKT2_PKT3_PT4_21rocsparse_index_base_b
                                        ; -- End function
	.set _ZN9rocsparseL19coomvn_atomic_loopsILj256ELj2ElfdddEEvlNS_24const_host_device_scalarIT5_EEPKT1_S6_PKT2_PKT3_PT4_21rocsparse_index_base_b.num_vgpr, 26
	.set _ZN9rocsparseL19coomvn_atomic_loopsILj256ELj2ElfdddEEvlNS_24const_host_device_scalarIT5_EEPKT1_S6_PKT2_PKT3_PT4_21rocsparse_index_base_b.num_agpr, 0
	.set _ZN9rocsparseL19coomvn_atomic_loopsILj256ELj2ElfdddEEvlNS_24const_host_device_scalarIT5_EEPKT1_S6_PKT2_PKT3_PT4_21rocsparse_index_base_b.numbered_sgpr, 26
	.set _ZN9rocsparseL19coomvn_atomic_loopsILj256ELj2ElfdddEEvlNS_24const_host_device_scalarIT5_EEPKT1_S6_PKT2_PKT3_PT4_21rocsparse_index_base_b.num_named_barrier, 0
	.set _ZN9rocsparseL19coomvn_atomic_loopsILj256ELj2ElfdddEEvlNS_24const_host_device_scalarIT5_EEPKT1_S6_PKT2_PKT3_PT4_21rocsparse_index_base_b.private_seg_size, 0
	.set _ZN9rocsparseL19coomvn_atomic_loopsILj256ELj2ElfdddEEvlNS_24const_host_device_scalarIT5_EEPKT1_S6_PKT2_PKT3_PT4_21rocsparse_index_base_b.uses_vcc, 1
	.set _ZN9rocsparseL19coomvn_atomic_loopsILj256ELj2ElfdddEEvlNS_24const_host_device_scalarIT5_EEPKT1_S6_PKT2_PKT3_PT4_21rocsparse_index_base_b.uses_flat_scratch, 0
	.set _ZN9rocsparseL19coomvn_atomic_loopsILj256ELj2ElfdddEEvlNS_24const_host_device_scalarIT5_EEPKT1_S6_PKT2_PKT3_PT4_21rocsparse_index_base_b.has_dyn_sized_stack, 0
	.set _ZN9rocsparseL19coomvn_atomic_loopsILj256ELj2ElfdddEEvlNS_24const_host_device_scalarIT5_EEPKT1_S6_PKT2_PKT3_PT4_21rocsparse_index_base_b.has_recursion, 0
	.set _ZN9rocsparseL19coomvn_atomic_loopsILj256ELj2ElfdddEEvlNS_24const_host_device_scalarIT5_EEPKT1_S6_PKT2_PKT3_PT4_21rocsparse_index_base_b.has_indirect_call, 0
	.section	.AMDGPU.csdata,"",@progbits
; Kernel info:
; codeLenInByte = 2728
; TotalNumSgprs: 28
; NumVgprs: 26
; ScratchSize: 0
; MemoryBound: 0
; FloatMode: 240
; IeeeMode: 1
; LDSByteSize: 4096 bytes/workgroup (compile time only)
; SGPRBlocks: 0
; VGPRBlocks: 1
; NumSGPRsForWavesPerEU: 28
; NumVGPRsForWavesPerEU: 26
; NamedBarCnt: 0
; Occupancy: 16
; WaveLimiterHint : 1
; COMPUTE_PGM_RSRC2:SCRATCH_EN: 0
; COMPUTE_PGM_RSRC2:USER_SGPR: 2
; COMPUTE_PGM_RSRC2:TRAP_HANDLER: 0
; COMPUTE_PGM_RSRC2:TGID_X_EN: 1
; COMPUTE_PGM_RSRC2:TGID_Y_EN: 0
; COMPUTE_PGM_RSRC2:TGID_Z_EN: 0
; COMPUTE_PGM_RSRC2:TIDIG_COMP_CNT: 0
	.section	.text._ZN9rocsparseL22coomvn_segmented_loopsILj256Ei21rocsparse_complex_numIfES1_IdES3_S3_EEvlT0_NS_24const_host_device_scalarIT4_EEPKS4_S9_PKT1_PKT2_PT3_PS4_PS6_21rocsparse_index_base_b,"axG",@progbits,_ZN9rocsparseL22coomvn_segmented_loopsILj256Ei21rocsparse_complex_numIfES1_IdES3_S3_EEvlT0_NS_24const_host_device_scalarIT4_EEPKS4_S9_PKT1_PKT2_PT3_PS4_PS6_21rocsparse_index_base_b,comdat
	.globl	_ZN9rocsparseL22coomvn_segmented_loopsILj256Ei21rocsparse_complex_numIfES1_IdES3_S3_EEvlT0_NS_24const_host_device_scalarIT4_EEPKS4_S9_PKT1_PKT2_PT3_PS4_PS6_21rocsparse_index_base_b ; -- Begin function _ZN9rocsparseL22coomvn_segmented_loopsILj256Ei21rocsparse_complex_numIfES1_IdES3_S3_EEvlT0_NS_24const_host_device_scalarIT4_EEPKS4_S9_PKT1_PKT2_PT3_PS4_PS6_21rocsparse_index_base_b
	.p2align	8
	.type	_ZN9rocsparseL22coomvn_segmented_loopsILj256Ei21rocsparse_complex_numIfES1_IdES3_S3_EEvlT0_NS_24const_host_device_scalarIT4_EEPKS4_S9_PKT1_PKT2_PT3_PS4_PS6_21rocsparse_index_base_b,@function
_ZN9rocsparseL22coomvn_segmented_loopsILj256Ei21rocsparse_complex_numIfES1_IdES3_S3_EEvlT0_NS_24const_host_device_scalarIT4_EEPKS4_S9_PKT1_PKT2_PT3_PS4_PS6_21rocsparse_index_base_b: ; @_ZN9rocsparseL22coomvn_segmented_loopsILj256Ei21rocsparse_complex_numIfES1_IdES3_S3_EEvlT0_NS_24const_host_device_scalarIT4_EEPKS4_S9_PKT1_PKT2_PT3_PS4_PS6_21rocsparse_index_base_b
; %bb.0:
	s_clause 0x1
	s_load_b64 s[28:29], s[0:1], 0x58
	s_load_b64 s[2:3], s[0:1], 0x10
	v_mov_b32_e32 v11, 0
	s_add_nc_u64 s[4:5], s[0:1], 16
	s_wait_kmcnt 0x0
	s_bitcmp1_b32 s29, 0
	s_cselect_b32 s3, s5, s3
	s_cselect_b32 s2, s4, s2
	flat_load_b128 v[2:5], v11, s[2:3]
	s_wait_loadcnt_dscnt 0x0
	v_cmp_neq_f64_e32 vcc_lo, 0, v[2:3]
	v_cmp_neq_f64_e64 s2, 0, v[4:5]
	s_or_b32 s2, vcc_lo, s2
	s_delay_alu instid0(SALU_CYCLE_1)
	s_and_saveexec_b32 s3, s2
	s_cbranch_execz .LBB100_87
; %bb.1:
	s_clause 0x1
	s_load_b96 s[24:26], s[0:1], 0x0
	s_load_b256 s[16:23], s[0:1], 0x20
	s_bfe_u32 s2, ttmp6, 0x4000c
	s_and_b32 s3, ttmp6, 15
	s_add_co_i32 s2, s2, 1
	s_getreg_b32 s4, hwreg(HW_REG_IB_STS2, 6, 4)
	s_mul_i32 s2, ttmp9, s2
	v_mov_b64_e32 v[6:7], 0
	s_add_co_i32 s3, s3, s2
	s_cmp_eq_u32 s4, 0
	v_mov_b32_e32 v20, -1
	s_cselect_b32 s27, ttmp9, s3
	s_delay_alu instid0(VALU_DEP_2) | instskip(SKIP_2) | instid1(SALU_CYCLE_1)
	v_mov_b64_e32 v[8:9], v[6:7]
	s_wait_kmcnt 0x0
	s_mul_i32 s2, s27, s26
	v_lshl_or_b32 v10, s2, 8, v0
	s_mov_b32 s2, exec_lo
	s_delay_alu instid0(VALU_DEP_1)
	v_lshl_add_u64 v[14:15], v[10:11], 3, s[20:21]
	v_cmpx_gt_i64_e64 s[24:25], v[10:11]
	s_cbranch_execz .LBB100_3
; %bb.2:
	v_lshlrev_b64_e32 v[6:7], 2, v[10:11]
	s_ashr_i32 s29, s28, 31
	s_delay_alu instid0(SALU_CYCLE_1) | instskip(NEXT) | instid1(VALU_DEP_1)
	s_lshl_b64 s[4:5], s[28:29], 4
	v_add_nc_u64_e32 v[8:9], s[18:19], v[6:7]
	v_add_nc_u64_e32 v[6:7], s[16:17], v[6:7]
	global_load_b32 v12, v[8:9], off th:TH_LOAD_NT
	global_load_b64 v[20:21], v[14:15], off th:TH_LOAD_NT
	global_load_b32 v1, v[6:7], off th:TH_LOAD_NT
	s_wait_loadcnt 0x2
	v_ashrrev_i32_e32 v13, 31, v12
	s_delay_alu instid0(VALU_DEP_1) | instskip(SKIP_3) | instid1(VALU_DEP_3)
	v_lshl_add_u64 v[8:9], v[12:13], 4, s[22:23]
	s_wait_loadcnt 0x1
	v_cvt_f64_f32_e32 v[12:13], v21
	v_cvt_f64_f32_e32 v[20:21], v20
	v_sub_nc_u64_e64 v[8:9], v[8:9], s[4:5]
	global_load_b128 v[16:19], v[8:9], off
	s_wait_loadcnt 0x0
	v_mul_f64_e64 v[6:7], v[18:19], -v[12:13]
	v_mul_f64_e32 v[8:9], v[18:19], v[20:21]
	s_delay_alu instid0(VALU_DEP_2) | instskip(NEXT) | instid1(VALU_DEP_2)
	v_fmac_f64_e32 v[6:7], v[20:21], v[16:17]
	v_fmac_f64_e32 v[8:9], v[12:13], v[16:17]
	v_subrev_nc_u32_e32 v20, s28, v1
.LBB100_3:
	s_or_b32 exec_lo, exec_lo, s2
	v_dual_lshlrev_b32 v12, 2, v0 :: v_dual_lshlrev_b32 v1, 4, v0
	v_cmp_eq_u32_e64 s2, 0, v0
	v_cmp_ne_u32_e64 s3, 0, v0
	ds_store_b32 v12, v20 offset:4096
	ds_store_b128 v1, v[6:9]
	v_or_b32_e32 v18, 0x1000, v12
	s_wait_dscnt 0x0
	s_barrier_signal -1
	s_barrier_wait -1
	s_delay_alu instid0(VALU_DEP_1)
	v_add_nc_u32_e32 v19, -4, v18
	s_and_saveexec_b32 s4, s3
	s_cbranch_execz .LBB100_7
; %bb.4:
	ds_load_b32 v12, v19
	s_mov_b32 s5, exec_lo
	s_wait_dscnt 0x0
	v_cmpx_eq_u32_e64 v20, v12
	s_cbranch_execz .LBB100_6
; %bb.5:
	v_add_nc_u32_e32 v12, -16, v1
	ds_load_b128 v[22:25], v12
	s_wait_dscnt 0x0
	v_add_f64_e32 v[6:7], v[6:7], v[22:23]
	v_add_f64_e32 v[8:9], v[8:9], v[24:25]
.LBB100_6:
	s_or_b32 exec_lo, exec_lo, s5
.LBB100_7:
	s_delay_alu instid0(SALU_CYCLE_1)
	s_or_b32 exec_lo, exec_lo, s4
	v_cmp_lt_u32_e64 s4, 1, v0
	v_add_nc_u32_e32 v21, -8, v18
	s_barrier_signal -1
	s_barrier_wait -1
	ds_store_b128 v1, v[6:9]
	s_wait_dscnt 0x0
	s_barrier_signal -1
	s_barrier_wait -1
	s_and_saveexec_b32 s5, s4
	s_cbranch_execz .LBB100_11
; %bb.8:
	ds_load_b32 v12, v21
	s_mov_b32 s6, exec_lo
	s_wait_dscnt 0x0
	v_cmpx_eq_u32_e64 v20, v12
	s_cbranch_execz .LBB100_10
; %bb.9:
	v_subrev_nc_u32_e32 v12, 32, v1
	ds_load_b128 v[22:25], v12
	s_wait_dscnt 0x0
	v_add_f64_e32 v[6:7], v[6:7], v[22:23]
	v_add_f64_e32 v[8:9], v[8:9], v[24:25]
.LBB100_10:
	s_or_b32 exec_lo, exec_lo, s6
.LBB100_11:
	s_delay_alu instid0(SALU_CYCLE_1)
	s_or_b32 exec_lo, exec_lo, s5
	v_cmp_lt_u32_e64 s5, 3, v0
	v_add_nc_u32_e32 v22, -16, v18
	s_barrier_signal -1
	s_barrier_wait -1
	ds_store_b128 v1, v[6:9]
	s_wait_dscnt 0x0
	s_barrier_signal -1
	s_barrier_wait -1
	s_and_saveexec_b32 s6, s5
	s_cbranch_execz .LBB100_15
; %bb.12:
	ds_load_b32 v12, v22
	s_mov_b32 s7, exec_lo
	s_wait_dscnt 0x0
	v_cmpx_eq_u32_e64 v20, v12
	s_cbranch_execz .LBB100_14
; %bb.13:
	v_subrev_nc_u32_e32 v12, 64, v1
	ds_load_b128 v[24:27], v12
	s_wait_dscnt 0x0
	v_add_f64_e32 v[6:7], v[6:7], v[24:25]
	v_add_f64_e32 v[8:9], v[8:9], v[26:27]
.LBB100_14:
	s_or_b32 exec_lo, exec_lo, s7
.LBB100_15:
	s_delay_alu instid0(SALU_CYCLE_1)
	s_or_b32 exec_lo, exec_lo, s6
	v_cmp_lt_u32_e64 s6, 7, v0
	v_subrev_nc_u32_e32 v23, 32, v18
	s_barrier_signal -1
	s_barrier_wait -1
	ds_store_b128 v1, v[6:9]
	s_wait_dscnt 0x0
	s_barrier_signal -1
	s_barrier_wait -1
	s_and_saveexec_b32 s7, s6
	s_cbranch_execz .LBB100_19
; %bb.16:
	ds_load_b32 v12, v23
	s_mov_b32 s8, exec_lo
	s_wait_dscnt 0x0
	v_cmpx_eq_u32_e64 v20, v12
	s_cbranch_execz .LBB100_18
; %bb.17:
	v_add_nc_u32_e32 v12, 0xffffff80, v1
	ds_load_b128 v[24:27], v12
	s_wait_dscnt 0x0
	v_add_f64_e32 v[6:7], v[6:7], v[24:25]
	v_add_f64_e32 v[8:9], v[8:9], v[26:27]
.LBB100_18:
	s_or_b32 exec_lo, exec_lo, s8
.LBB100_19:
	s_delay_alu instid0(SALU_CYCLE_1)
	s_or_b32 exec_lo, exec_lo, s7
	v_cmp_lt_u32_e64 s7, 15, v0
	v_subrev_nc_u32_e32 v24, 64, v18
	s_barrier_signal -1
	s_barrier_wait -1
	ds_store_b128 v1, v[6:9]
	s_wait_dscnt 0x0
	s_barrier_signal -1
	s_barrier_wait -1
	s_and_saveexec_b32 s8, s7
	s_cbranch_execz .LBB100_23
; %bb.20:
	ds_load_b32 v12, v24
	s_mov_b32 s9, exec_lo
	s_wait_dscnt 0x0
	v_cmpx_eq_u32_e64 v20, v12
	s_cbranch_execz .LBB100_22
; %bb.21:
	v_add_nc_u32_e32 v12, 0xffffff00, v1
	ds_load_b128 v[26:29], v12
	s_wait_dscnt 0x0
	v_add_f64_e32 v[6:7], v[6:7], v[26:27]
	v_add_f64_e32 v[8:9], v[8:9], v[28:29]
.LBB100_22:
	s_or_b32 exec_lo, exec_lo, s9
.LBB100_23:
	s_delay_alu instid0(SALU_CYCLE_1)
	s_or_b32 exec_lo, exec_lo, s8
	v_cmp_lt_u32_e64 s8, 31, v0
	v_add_nc_u32_e32 v25, 0xffffff80, v18
	s_barrier_signal -1
	s_barrier_wait -1
	ds_store_b128 v1, v[6:9]
	s_wait_dscnt 0x0
	s_barrier_signal -1
	s_barrier_wait -1
	s_and_saveexec_b32 s9, s8
	s_cbranch_execz .LBB100_27
; %bb.24:
	ds_load_b32 v12, v25
	s_mov_b32 s10, exec_lo
	s_wait_dscnt 0x0
	v_cmpx_eq_u32_e64 v20, v12
	s_cbranch_execz .LBB100_26
; %bb.25:
	v_add_nc_u32_e32 v12, 0xfffffe00, v1
	ds_load_b128 v[26:29], v12
	s_wait_dscnt 0x0
	v_add_f64_e32 v[6:7], v[6:7], v[26:27]
	v_add_f64_e32 v[8:9], v[8:9], v[28:29]
.LBB100_26:
	s_or_b32 exec_lo, exec_lo, s10
.LBB100_27:
	s_delay_alu instid0(SALU_CYCLE_1)
	s_or_b32 exec_lo, exec_lo, s9
	v_cmp_lt_u32_e64 s9, 63, v0
	v_add_nc_u32_e32 v26, 0xffffff00, v18
	s_barrier_signal -1
	s_barrier_wait -1
	ds_store_b128 v1, v[6:9]
	s_wait_dscnt 0x0
	s_barrier_signal -1
	s_barrier_wait -1
	s_and_saveexec_b32 s10, s9
	s_cbranch_execz .LBB100_31
; %bb.28:
	ds_load_b32 v12, v26
	s_mov_b32 s11, exec_lo
	s_wait_dscnt 0x0
	v_cmpx_eq_u32_e64 v20, v12
	s_cbranch_execz .LBB100_30
; %bb.29:
	v_add_nc_u32_e32 v12, 0xfffffc00, v1
	ds_load_b128 v[28:31], v12
	s_wait_dscnt 0x0
	v_add_f64_e32 v[6:7], v[6:7], v[28:29]
	v_add_f64_e32 v[8:9], v[8:9], v[30:31]
.LBB100_30:
	s_or_b32 exec_lo, exec_lo, s11
.LBB100_31:
	s_delay_alu instid0(SALU_CYCLE_1)
	s_or_b32 exec_lo, exec_lo, s10
	s_load_b64 s[20:21], s[0:1], 0x40
	v_cmp_lt_u32_e64 s10, 0x7f, v0
	v_add_nc_u32_e32 v27, 0xfffffe00, v18
	s_barrier_signal -1
	s_barrier_wait -1
	ds_store_b128 v1, v[6:9]
	s_wait_dscnt 0x0
	s_barrier_signal -1
	s_barrier_wait -1
	s_and_saveexec_b32 s11, s10
	s_cbranch_execz .LBB100_35
; %bb.32:
	ds_load_b32 v12, v27
	s_mov_b32 s12, exec_lo
	s_wait_dscnt 0x0
	v_cmpx_eq_u32_e64 v20, v12
	s_cbranch_execz .LBB100_34
; %bb.33:
	v_add_nc_u32_e32 v12, 0xfffff800, v1
	ds_load_b128 v[28:31], v12
	s_wait_dscnt 0x0
	v_add_f64_e32 v[6:7], v[6:7], v[28:29]
	v_add_f64_e32 v[8:9], v[8:9], v[30:31]
.LBB100_34:
	s_or_b32 exec_lo, exec_lo, s12
.LBB100_35:
	s_delay_alu instid0(SALU_CYCLE_1)
	s_or_b32 exec_lo, exec_lo, s11
	v_cmp_gt_u32_e64 s11, 0xff, v0
	s_barrier_signal -1
	s_barrier_wait -1
	ds_store_b128 v1, v[6:9]
	s_wait_dscnt 0x0
	s_barrier_signal -1
	s_barrier_wait -1
	s_and_saveexec_b32 s13, s11
	s_cbranch_execz .LBB100_38
; %bb.36:
	ds_load_b32 v12, v18 offset:4
	v_cmp_lt_i32_e64 s12, -1, v20
	s_wait_dscnt 0x0
	v_cmp_ne_u32_e32 vcc_lo, v20, v12
	s_and_b32 s12, s12, vcc_lo
	s_delay_alu instid0(SALU_CYCLE_1)
	s_and_b32 exec_lo, exec_lo, s12
	s_cbranch_execz .LBB100_38
; %bb.37:
	s_wait_kmcnt 0x0
	global_load_b128 v[28:31], v20, s[20:21] scale_offset
	s_wait_loadcnt 0x0
	v_fmac_f64_e32 v[28:29], v[2:3], v[6:7]
	v_fmac_f64_e32 v[30:31], v[4:5], v[6:7]
	s_delay_alu instid0(VALU_DEP_2) | instskip(NEXT) | instid1(VALU_DEP_2)
	v_fma_f64 v[28:29], -v[4:5], v[8:9], v[28:29]
	v_fmac_f64_e32 v[30:31], v[2:3], v[8:9]
	global_store_b128 v20, v[28:31], s[20:21] scale_offset
.LBB100_38:
	s_wait_xcnt 0x0
	s_or_b32 exec_lo, exec_lo, s13
	s_load_b128 s[12:15], s[0:1], 0x48
	s_cmp_lt_i32 s26, 2
	s_cbranch_scc1 .LBB100_85
; %bb.39:
	v_lshl_add_u64 v[6:7], v[10:11], 2, 0x400
	v_add_nc_u64_e32 v[14:15], 0x800, v[14:15]
	v_add_nc_u64_e32 v[10:11], 0x100, v[10:11]
	s_ashr_i32 s29, s28, 31
	v_dual_add_nc_u32 v28, -16, v1 :: v_dual_mov_b32 v36, 0
	v_add_nc_u64_e32 v[12:13], s[18:19], v[6:7]
	v_add_nc_u64_e32 v[16:17], s[16:17], v[6:7]
	v_subrev_nc_u32_e32 v29, 32, v1
	v_subrev_nc_u32_e32 v30, 64, v1
	v_add_nc_u32_e32 v31, 0xffffff80, v1
	v_add_nc_u32_e32 v32, 0xffffff00, v1
	;; [unrolled: 1-line block ×5, first 2 shown]
	s_wait_xcnt 0x0
	s_lshl_b64 s[0:1], s[28:29], 4
	s_delay_alu instid0(SALU_CYCLE_1)
	s_sub_nc_u64 s[16:17], s[22:23], s[0:1]
	s_add_co_i32 s1, s26, -1
	s_branch .LBB100_41
.LBB100_40:                             ;   in Loop: Header=BB100_41 Depth=1
	s_wait_xcnt 0x0
	s_or_b32 exec_lo, exec_lo, s18
	v_add_nc_u64_e32 v[12:13], 0x400, v[12:13]
	v_add_nc_u64_e32 v[14:15], 0x800, v[14:15]
	;; [unrolled: 1-line block ×4, first 2 shown]
	s_add_co_i32 s1, s1, -1
	s_delay_alu instid0(SALU_CYCLE_1)
	s_cmp_eq_u32 s1, 0
	s_cbranch_scc1 .LBB100_85
.LBB100_41:                             ; =>This Inner Loop Header: Depth=1
	v_mov_b64_e32 v[6:7], 0
	v_mov_b64_e32 v[8:9], 0
	v_mov_b32_e32 v20, -1
	s_mov_b32 s0, exec_lo
	v_cmpx_gt_i64_e64 s[24:25], v[10:11]
	s_cbranch_execz .LBB100_43
; %bb.42:                               ;   in Loop: Header=BB100_41 Depth=1
	global_load_b32 v8, v[12:13], off th:TH_LOAD_NT
	global_load_b64 v[6:7], v[14:15], off th:TH_LOAD_NT
	s_wait_loadcnt 0x1
	global_load_b128 v[38:41], v8, s[16:17] scale_offset
	global_load_b32 v20, v[16:17], off th:TH_LOAD_NT
	s_wait_loadcnt 0x2
	v_cvt_f64_f32_e32 v[42:43], v7
	v_cvt_f64_f32_e32 v[44:45], v6
	s_wait_loadcnt 0x1
	s_delay_alu instid0(VALU_DEP_2) | instskip(SKIP_1) | instid1(VALU_DEP_2)
	v_mul_f64_e64 v[6:7], v[40:41], -v[42:43]
	s_wait_xcnt 0x1
	v_mul_f64_e32 v[8:9], v[40:41], v[44:45]
	s_wait_loadcnt 0x0
	v_subrev_nc_u32_e32 v20, s28, v20
	s_delay_alu instid0(VALU_DEP_3) | instskip(NEXT) | instid1(VALU_DEP_3)
	v_fmac_f64_e32 v[6:7], v[44:45], v[38:39]
	v_fmac_f64_e32 v[8:9], v[42:43], v[38:39]
.LBB100_43:                             ;   in Loop: Header=BB100_41 Depth=1
	s_wait_xcnt 0x0
	s_or_b32 exec_lo, exec_lo, s0
	s_and_saveexec_b32 s0, s2
	s_cbranch_execz .LBB100_50
; %bb.44:                               ;   in Loop: Header=BB100_41 Depth=1
	ds_load_b32 v37, v36 offset:5116
	s_mov_b32 s18, exec_lo
	s_wait_dscnt 0x0
	v_cmpx_ne_u32_e64 v20, v37
	s_xor_b32 s18, exec_lo, s18
	s_cbranch_execz .LBB100_47
; %bb.45:                               ;   in Loop: Header=BB100_41 Depth=1
	v_cmp_gt_i32_e32 vcc_lo, 0, v37
	s_cbranch_vccnz .LBB100_47
; %bb.46:                               ;   in Loop: Header=BB100_41 Depth=1
	s_wait_kmcnt 0x0
	global_load_b128 v[38:41], v37, s[20:21] scale_offset
	ds_load_b128 v[42:45], v36 offset:4080
	s_wait_loadcnt_dscnt 0x0
	v_fmac_f64_e32 v[38:39], v[2:3], v[42:43]
	v_fmac_f64_e32 v[40:41], v[4:5], v[42:43]
	s_delay_alu instid0(VALU_DEP_2) | instskip(NEXT) | instid1(VALU_DEP_2)
	v_fma_f64 v[38:39], -v[4:5], v[44:45], v[38:39]
	v_fmac_f64_e32 v[40:41], v[2:3], v[44:45]
	global_store_b128 v37, v[38:41], s[20:21] scale_offset
.LBB100_47:                             ;   in Loop: Header=BB100_41 Depth=1
	s_wait_xcnt 0x0
	s_and_not1_saveexec_b32 s18, s18
	s_cbranch_execz .LBB100_49
; %bb.48:                               ;   in Loop: Header=BB100_41 Depth=1
	ds_load_b128 v[38:41], v36 offset:4080
	s_wait_dscnt 0x0
	v_add_f64_e32 v[6:7], v[6:7], v[38:39]
	v_add_f64_e32 v[8:9], v[8:9], v[40:41]
.LBB100_49:                             ;   in Loop: Header=BB100_41 Depth=1
	s_or_b32 exec_lo, exec_lo, s18
.LBB100_50:                             ;   in Loop: Header=BB100_41 Depth=1
	s_delay_alu instid0(SALU_CYCLE_1)
	s_or_b32 exec_lo, exec_lo, s0
	s_wait_storecnt 0x0
	s_barrier_signal -1
	s_barrier_wait -1
	ds_store_b32 v18, v20
	ds_store_b128 v1, v[6:9]
	s_wait_dscnt 0x0
	s_barrier_signal -1
	s_barrier_wait -1
	s_and_saveexec_b32 s0, s3
	s_cbranch_execz .LBB100_54
; %bb.51:                               ;   in Loop: Header=BB100_41 Depth=1
	ds_load_b32 v37, v19
	s_mov_b32 s18, exec_lo
	s_wait_dscnt 0x0
	v_cmpx_eq_u32_e64 v20, v37
	s_cbranch_execz .LBB100_53
; %bb.52:                               ;   in Loop: Header=BB100_41 Depth=1
	ds_load_b128 v[38:41], v28
	s_wait_dscnt 0x0
	v_add_f64_e32 v[6:7], v[6:7], v[38:39]
	v_add_f64_e32 v[8:9], v[8:9], v[40:41]
.LBB100_53:                             ;   in Loop: Header=BB100_41 Depth=1
	s_or_b32 exec_lo, exec_lo, s18
.LBB100_54:                             ;   in Loop: Header=BB100_41 Depth=1
	s_delay_alu instid0(SALU_CYCLE_1)
	s_or_b32 exec_lo, exec_lo, s0
	s_barrier_signal -1
	s_barrier_wait -1
	ds_store_b128 v1, v[6:9]
	s_wait_dscnt 0x0
	s_barrier_signal -1
	s_barrier_wait -1
	s_and_saveexec_b32 s0, s4
	s_cbranch_execz .LBB100_58
; %bb.55:                               ;   in Loop: Header=BB100_41 Depth=1
	ds_load_b32 v37, v21
	s_mov_b32 s18, exec_lo
	s_wait_dscnt 0x0
	v_cmpx_eq_u32_e64 v20, v37
	s_cbranch_execz .LBB100_57
; %bb.56:                               ;   in Loop: Header=BB100_41 Depth=1
	ds_load_b128 v[38:41], v29
	s_wait_dscnt 0x0
	v_add_f64_e32 v[6:7], v[6:7], v[38:39]
	v_add_f64_e32 v[8:9], v[8:9], v[40:41]
.LBB100_57:                             ;   in Loop: Header=BB100_41 Depth=1
	s_or_b32 exec_lo, exec_lo, s18
.LBB100_58:                             ;   in Loop: Header=BB100_41 Depth=1
	s_delay_alu instid0(SALU_CYCLE_1)
	s_or_b32 exec_lo, exec_lo, s0
	s_barrier_signal -1
	s_barrier_wait -1
	;; [unrolled: 24-line block ×8, first 2 shown]
	ds_store_b128 v1, v[6:9]
	s_wait_dscnt 0x0
	s_barrier_signal -1
	s_barrier_wait -1
	s_and_saveexec_b32 s18, s11
	s_cbranch_execz .LBB100_40
; %bb.83:                               ;   in Loop: Header=BB100_41 Depth=1
	ds_load_b32 v37, v18 offset:4
	v_cmp_lt_i32_e64 s0, -1, v20
	s_wait_dscnt 0x0
	v_cmp_ne_u32_e32 vcc_lo, v20, v37
	s_and_b32 s0, s0, vcc_lo
	s_delay_alu instid0(SALU_CYCLE_1)
	s_and_b32 exec_lo, exec_lo, s0
	s_cbranch_execz .LBB100_40
; %bb.84:                               ;   in Loop: Header=BB100_41 Depth=1
	s_wait_kmcnt 0x0
	global_load_b128 v[38:41], v20, s[20:21] scale_offset
	s_wait_loadcnt 0x0
	v_fmac_f64_e32 v[38:39], v[2:3], v[6:7]
	v_fmac_f64_e32 v[40:41], v[4:5], v[6:7]
	s_delay_alu instid0(VALU_DEP_2) | instskip(NEXT) | instid1(VALU_DEP_2)
	v_fma_f64 v[38:39], -v[4:5], v[8:9], v[38:39]
	v_fmac_f64_e32 v[40:41], v[2:3], v[8:9]
	global_store_b128 v20, v[38:41], s[20:21] scale_offset
	s_branch .LBB100_40
.LBB100_85:
	v_cmp_eq_u32_e32 vcc_lo, 0xff, v0
	s_and_b32 exec_lo, exec_lo, vcc_lo
	s_cbranch_execz .LBB100_87
; %bb.86:
	v_dual_mul_f64 v[10:11], v[8:9], -v[4:5] :: v_dual_mov_b32 v0, s27
	v_mul_f64_e32 v[12:13], v[2:3], v[8:9]
	s_delay_alu instid0(VALU_DEP_2) | instskip(NEXT) | instid1(VALU_DEP_2)
	v_fmac_f64_e32 v[10:11], v[2:3], v[6:7]
	v_fmac_f64_e32 v[12:13], v[4:5], v[6:7]
	s_wait_kmcnt 0x0
	s_clause 0x1
	global_store_b32 v0, v20, s[12:13] scale_offset th:TH_STORE_NT
	global_store_b128 v0, v[10:13], s[14:15] scale_offset th:TH_STORE_NT
.LBB100_87:
	s_endpgm
	.section	.rodata,"a",@progbits
	.p2align	6, 0x0
	.amdhsa_kernel _ZN9rocsparseL22coomvn_segmented_loopsILj256Ei21rocsparse_complex_numIfES1_IdES3_S3_EEvlT0_NS_24const_host_device_scalarIT4_EEPKS4_S9_PKT1_PKT2_PT3_PS4_PS6_21rocsparse_index_base_b
		.amdhsa_group_segment_fixed_size 5120
		.amdhsa_private_segment_fixed_size 0
		.amdhsa_kernarg_size 96
		.amdhsa_user_sgpr_count 2
		.amdhsa_user_sgpr_dispatch_ptr 0
		.amdhsa_user_sgpr_queue_ptr 0
		.amdhsa_user_sgpr_kernarg_segment_ptr 1
		.amdhsa_user_sgpr_dispatch_id 0
		.amdhsa_user_sgpr_kernarg_preload_length 0
		.amdhsa_user_sgpr_kernarg_preload_offset 0
		.amdhsa_user_sgpr_private_segment_size 0
		.amdhsa_wavefront_size32 1
		.amdhsa_uses_dynamic_stack 0
		.amdhsa_enable_private_segment 0
		.amdhsa_system_sgpr_workgroup_id_x 1
		.amdhsa_system_sgpr_workgroup_id_y 0
		.amdhsa_system_sgpr_workgroup_id_z 0
		.amdhsa_system_sgpr_workgroup_info 0
		.amdhsa_system_vgpr_workitem_id 0
		.amdhsa_next_free_vgpr 46
		.amdhsa_next_free_sgpr 30
		.amdhsa_named_barrier_count 0
		.amdhsa_reserve_vcc 1
		.amdhsa_float_round_mode_32 0
		.amdhsa_float_round_mode_16_64 0
		.amdhsa_float_denorm_mode_32 3
		.amdhsa_float_denorm_mode_16_64 3
		.amdhsa_fp16_overflow 0
		.amdhsa_memory_ordered 1
		.amdhsa_forward_progress 1
		.amdhsa_inst_pref_size 24
		.amdhsa_round_robin_scheduling 0
		.amdhsa_exception_fp_ieee_invalid_op 0
		.amdhsa_exception_fp_denorm_src 0
		.amdhsa_exception_fp_ieee_div_zero 0
		.amdhsa_exception_fp_ieee_overflow 0
		.amdhsa_exception_fp_ieee_underflow 0
		.amdhsa_exception_fp_ieee_inexact 0
		.amdhsa_exception_int_div_zero 0
	.end_amdhsa_kernel
	.section	.text._ZN9rocsparseL22coomvn_segmented_loopsILj256Ei21rocsparse_complex_numIfES1_IdES3_S3_EEvlT0_NS_24const_host_device_scalarIT4_EEPKS4_S9_PKT1_PKT2_PT3_PS4_PS6_21rocsparse_index_base_b,"axG",@progbits,_ZN9rocsparseL22coomvn_segmented_loopsILj256Ei21rocsparse_complex_numIfES1_IdES3_S3_EEvlT0_NS_24const_host_device_scalarIT4_EEPKS4_S9_PKT1_PKT2_PT3_PS4_PS6_21rocsparse_index_base_b,comdat
.Lfunc_end100:
	.size	_ZN9rocsparseL22coomvn_segmented_loopsILj256Ei21rocsparse_complex_numIfES1_IdES3_S3_EEvlT0_NS_24const_host_device_scalarIT4_EEPKS4_S9_PKT1_PKT2_PT3_PS4_PS6_21rocsparse_index_base_b, .Lfunc_end100-_ZN9rocsparseL22coomvn_segmented_loopsILj256Ei21rocsparse_complex_numIfES1_IdES3_S3_EEvlT0_NS_24const_host_device_scalarIT4_EEPKS4_S9_PKT1_PKT2_PT3_PS4_PS6_21rocsparse_index_base_b
                                        ; -- End function
	.set _ZN9rocsparseL22coomvn_segmented_loopsILj256Ei21rocsparse_complex_numIfES1_IdES3_S3_EEvlT0_NS_24const_host_device_scalarIT4_EEPKS4_S9_PKT1_PKT2_PT3_PS4_PS6_21rocsparse_index_base_b.num_vgpr, 46
	.set _ZN9rocsparseL22coomvn_segmented_loopsILj256Ei21rocsparse_complex_numIfES1_IdES3_S3_EEvlT0_NS_24const_host_device_scalarIT4_EEPKS4_S9_PKT1_PKT2_PT3_PS4_PS6_21rocsparse_index_base_b.num_agpr, 0
	.set _ZN9rocsparseL22coomvn_segmented_loopsILj256Ei21rocsparse_complex_numIfES1_IdES3_S3_EEvlT0_NS_24const_host_device_scalarIT4_EEPKS4_S9_PKT1_PKT2_PT3_PS4_PS6_21rocsparse_index_base_b.numbered_sgpr, 30
	.set _ZN9rocsparseL22coomvn_segmented_loopsILj256Ei21rocsparse_complex_numIfES1_IdES3_S3_EEvlT0_NS_24const_host_device_scalarIT4_EEPKS4_S9_PKT1_PKT2_PT3_PS4_PS6_21rocsparse_index_base_b.num_named_barrier, 0
	.set _ZN9rocsparseL22coomvn_segmented_loopsILj256Ei21rocsparse_complex_numIfES1_IdES3_S3_EEvlT0_NS_24const_host_device_scalarIT4_EEPKS4_S9_PKT1_PKT2_PT3_PS4_PS6_21rocsparse_index_base_b.private_seg_size, 0
	.set _ZN9rocsparseL22coomvn_segmented_loopsILj256Ei21rocsparse_complex_numIfES1_IdES3_S3_EEvlT0_NS_24const_host_device_scalarIT4_EEPKS4_S9_PKT1_PKT2_PT3_PS4_PS6_21rocsparse_index_base_b.uses_vcc, 1
	.set _ZN9rocsparseL22coomvn_segmented_loopsILj256Ei21rocsparse_complex_numIfES1_IdES3_S3_EEvlT0_NS_24const_host_device_scalarIT4_EEPKS4_S9_PKT1_PKT2_PT3_PS4_PS6_21rocsparse_index_base_b.uses_flat_scratch, 0
	.set _ZN9rocsparseL22coomvn_segmented_loopsILj256Ei21rocsparse_complex_numIfES1_IdES3_S3_EEvlT0_NS_24const_host_device_scalarIT4_EEPKS4_S9_PKT1_PKT2_PT3_PS4_PS6_21rocsparse_index_base_b.has_dyn_sized_stack, 0
	.set _ZN9rocsparseL22coomvn_segmented_loopsILj256Ei21rocsparse_complex_numIfES1_IdES3_S3_EEvlT0_NS_24const_host_device_scalarIT4_EEPKS4_S9_PKT1_PKT2_PT3_PS4_PS6_21rocsparse_index_base_b.has_recursion, 0
	.set _ZN9rocsparseL22coomvn_segmented_loopsILj256Ei21rocsparse_complex_numIfES1_IdES3_S3_EEvlT0_NS_24const_host_device_scalarIT4_EEPKS4_S9_PKT1_PKT2_PT3_PS4_PS6_21rocsparse_index_base_b.has_indirect_call, 0
	.section	.AMDGPU.csdata,"",@progbits
; Kernel info:
; codeLenInByte = 2968
; TotalNumSgprs: 32
; NumVgprs: 46
; ScratchSize: 0
; MemoryBound: 0
; FloatMode: 240
; IeeeMode: 1
; LDSByteSize: 5120 bytes/workgroup (compile time only)
; SGPRBlocks: 0
; VGPRBlocks: 2
; NumSGPRsForWavesPerEU: 32
; NumVGPRsForWavesPerEU: 46
; NamedBarCnt: 0
; Occupancy: 16
; WaveLimiterHint : 1
; COMPUTE_PGM_RSRC2:SCRATCH_EN: 0
; COMPUTE_PGM_RSRC2:USER_SGPR: 2
; COMPUTE_PGM_RSRC2:TRAP_HANDLER: 0
; COMPUTE_PGM_RSRC2:TGID_X_EN: 1
; COMPUTE_PGM_RSRC2:TGID_Y_EN: 0
; COMPUTE_PGM_RSRC2:TGID_Z_EN: 0
; COMPUTE_PGM_RSRC2:TIDIG_COMP_CNT: 0
	.section	.text._ZN9rocsparseL13coomvt_kernelILj1024Ei21rocsparse_complex_numIfES1_IdES3_S3_EEv20rocsparse_operation_lNS_24const_host_device_scalarIT4_EEPKT0_SA_PKT1_PKT2_PT3_21rocsparse_index_base_b,"axG",@progbits,_ZN9rocsparseL13coomvt_kernelILj1024Ei21rocsparse_complex_numIfES1_IdES3_S3_EEv20rocsparse_operation_lNS_24const_host_device_scalarIT4_EEPKT0_SA_PKT1_PKT2_PT3_21rocsparse_index_base_b,comdat
	.globl	_ZN9rocsparseL13coomvt_kernelILj1024Ei21rocsparse_complex_numIfES1_IdES3_S3_EEv20rocsparse_operation_lNS_24const_host_device_scalarIT4_EEPKT0_SA_PKT1_PKT2_PT3_21rocsparse_index_base_b ; -- Begin function _ZN9rocsparseL13coomvt_kernelILj1024Ei21rocsparse_complex_numIfES1_IdES3_S3_EEv20rocsparse_operation_lNS_24const_host_device_scalarIT4_EEPKT0_SA_PKT1_PKT2_PT3_21rocsparse_index_base_b
	.p2align	8
	.type	_ZN9rocsparseL13coomvt_kernelILj1024Ei21rocsparse_complex_numIfES1_IdES3_S3_EEv20rocsparse_operation_lNS_24const_host_device_scalarIT4_EEPKT0_SA_PKT1_PKT2_PT3_21rocsparse_index_base_b,@function
_ZN9rocsparseL13coomvt_kernelILj1024Ei21rocsparse_complex_numIfES1_IdES3_S3_EEv20rocsparse_operation_lNS_24const_host_device_scalarIT4_EEPKT0_SA_PKT1_PKT2_PT3_21rocsparse_index_base_b: ; @_ZN9rocsparseL13coomvt_kernelILj1024Ei21rocsparse_complex_numIfES1_IdES3_S3_EEv20rocsparse_operation_lNS_24const_host_device_scalarIT4_EEPKT0_SA_PKT1_PKT2_PT3_21rocsparse_index_base_b
; %bb.0:
	s_clause 0x1
	s_load_b64 s[8:9], s[0:1], 0x48
	s_load_b128 s[4:7], s[0:1], 0x8
	v_mov_b32_e32 v1, 0
	s_add_nc_u64 s[2:3], s[0:1], 16
	s_wait_kmcnt 0x0
	s_bitcmp1_b32 s9, 0
	s_cselect_b32 s3, s3, s7
	s_cselect_b32 s2, s2, s6
	flat_load_b128 v[2:5], v1, s[2:3]
	s_wait_loadcnt_dscnt 0x0
	v_cmp_neq_f64_e32 vcc_lo, 0, v[2:3]
	v_cmp_neq_f64_e64 s2, 0, v[4:5]
	s_or_b32 s2, vcc_lo, s2
	s_delay_alu instid0(SALU_CYCLE_1)
	s_and_saveexec_b32 s3, s2
	s_cbranch_execz .LBB101_3
; %bb.1:
	s_load_b32 s2, s[0:1], 0x5c
	s_bfe_u32 s3, ttmp6, 0x4000c
	s_and_b32 s6, ttmp6, 15
	s_add_co_i32 s3, s3, 1
	s_getreg_b32 s7, hwreg(HW_REG_IB_STS2, 6, 4)
	s_mul_i32 s3, ttmp9, s3
	s_delay_alu instid0(SALU_CYCLE_1) | instskip(SKIP_4) | instid1(SALU_CYCLE_1)
	s_add_co_i32 s6, s6, s3
	s_wait_kmcnt 0x0
	s_and_b32 s2, s2, 0xffff
	s_cmp_eq_u32 s7, 0
	s_cselect_b32 s3, ttmp9, s6
	v_mad_u32 v0, s3, s2, v0
	s_delay_alu instid0(VALU_DEP_1)
	v_cmp_gt_i64_e32 vcc_lo, s[4:5], v[0:1]
	s_and_b32 exec_lo, exec_lo, vcc_lo
	s_cbranch_execz .LBB101_3
; %bb.2:
	s_load_b256 s[12:19], s[0:1], 0x20
	v_lshlrev_b64_e32 v[10:11], 2, v[0:1]
	s_load_b32 s2, s[0:1], 0x0
	s_wait_kmcnt 0x0
	s_delay_alu instid0(VALU_DEP_1)
	v_add_nc_u64_e32 v[6:7], s[12:13], v[10:11]
	v_lshl_add_u64 v[0:1], v[0:1], 3, s[16:17]
	v_add_nc_u64_e32 v[10:11], s[14:15], v[10:11]
	s_cmp_eq_u32 s2, 0x71
	s_load_b64 s[0:1], s[0:1], 0x40
	s_cselect_b32 s2, -1, 0
	global_load_b64 v[0:1], v[0:1], off
	global_load_b32 v6, v[6:7], off
	global_load_b32 v14, v[10:11], off
	s_wait_loadcnt 0x2
	s_wait_xcnt 0x2
	v_cndmask_b32_e64 v1, v1, -v1, s2
	s_wait_loadcnt 0x1
	s_wait_xcnt 0x1
	v_subrev_nc_u32_e32 v6, s8, v6
	s_wait_xcnt 0x0
	v_cvt_f64_f32_e32 v[10:11], v1
	global_load_b128 v[6:9], v6, s[18:19] scale_offset
	v_cvt_f64_f32_e32 v[0:1], v0
	v_mul_f64_e32 v[12:13], v[2:3], v[10:11]
	v_mul_f64_e64 v[10:11], -v[4:5], v[10:11]
	s_delay_alu instid0(VALU_DEP_2) | instskip(SKIP_2) | instid1(VALU_DEP_1)
	v_fmac_f64_e32 v[12:13], v[4:5], v[0:1]
	s_wait_loadcnt 0x1
	v_subrev_nc_u32_e32 v4, s8, v14
	v_ashrrev_i32_e32 v5, 31, v4
	s_delay_alu instid0(VALU_DEP_4) | instskip(SKIP_1) | instid1(VALU_DEP_2)
	v_fmac_f64_e32 v[10:11], v[2:3], v[0:1]
	s_wait_kmcnt 0x0
	v_lshl_add_u64 v[4:5], v[4:5], 4, s[0:1]
	s_wait_loadcnt 0x0
	v_mul_f64_e64 v[0:1], v[8:9], -v[12:13]
	s_delay_alu instid0(VALU_DEP_3) | instskip(NEXT) | instid1(VALU_DEP_2)
	v_mul_f64_e32 v[2:3], v[8:9], v[10:11]
	v_fmac_f64_e32 v[0:1], v[10:11], v[6:7]
	s_delay_alu instid0(VALU_DEP_2)
	v_fmac_f64_e32 v[2:3], v[12:13], v[6:7]
	global_atomic_add_f64 v[4:5], v[0:1], off scope:SCOPE_DEV
	s_wait_xcnt 0x0
	global_atomic_add_f64 v[4:5], v[2:3], off offset:8 scope:SCOPE_DEV
.LBB101_3:
	s_endpgm
	.section	.rodata,"a",@progbits
	.p2align	6, 0x0
	.amdhsa_kernel _ZN9rocsparseL13coomvt_kernelILj1024Ei21rocsparse_complex_numIfES1_IdES3_S3_EEv20rocsparse_operation_lNS_24const_host_device_scalarIT4_EEPKT0_SA_PKT1_PKT2_PT3_21rocsparse_index_base_b
		.amdhsa_group_segment_fixed_size 0
		.amdhsa_private_segment_fixed_size 0
		.amdhsa_kernarg_size 336
		.amdhsa_user_sgpr_count 2
		.amdhsa_user_sgpr_dispatch_ptr 0
		.amdhsa_user_sgpr_queue_ptr 0
		.amdhsa_user_sgpr_kernarg_segment_ptr 1
		.amdhsa_user_sgpr_dispatch_id 0
		.amdhsa_user_sgpr_kernarg_preload_length 0
		.amdhsa_user_sgpr_kernarg_preload_offset 0
		.amdhsa_user_sgpr_private_segment_size 0
		.amdhsa_wavefront_size32 1
		.amdhsa_uses_dynamic_stack 0
		.amdhsa_enable_private_segment 0
		.amdhsa_system_sgpr_workgroup_id_x 1
		.amdhsa_system_sgpr_workgroup_id_y 0
		.amdhsa_system_sgpr_workgroup_id_z 0
		.amdhsa_system_sgpr_workgroup_info 0
		.amdhsa_system_vgpr_workitem_id 0
		.amdhsa_next_free_vgpr 15
		.amdhsa_next_free_sgpr 20
		.amdhsa_named_barrier_count 0
		.amdhsa_reserve_vcc 1
		.amdhsa_float_round_mode_32 0
		.amdhsa_float_round_mode_16_64 0
		.amdhsa_float_denorm_mode_32 3
		.amdhsa_float_denorm_mode_16_64 3
		.amdhsa_fp16_overflow 0
		.amdhsa_memory_ordered 1
		.amdhsa_forward_progress 1
		.amdhsa_inst_pref_size 4
		.amdhsa_round_robin_scheduling 0
		.amdhsa_exception_fp_ieee_invalid_op 0
		.amdhsa_exception_fp_denorm_src 0
		.amdhsa_exception_fp_ieee_div_zero 0
		.amdhsa_exception_fp_ieee_overflow 0
		.amdhsa_exception_fp_ieee_underflow 0
		.amdhsa_exception_fp_ieee_inexact 0
		.amdhsa_exception_int_div_zero 0
	.end_amdhsa_kernel
	.section	.text._ZN9rocsparseL13coomvt_kernelILj1024Ei21rocsparse_complex_numIfES1_IdES3_S3_EEv20rocsparse_operation_lNS_24const_host_device_scalarIT4_EEPKT0_SA_PKT1_PKT2_PT3_21rocsparse_index_base_b,"axG",@progbits,_ZN9rocsparseL13coomvt_kernelILj1024Ei21rocsparse_complex_numIfES1_IdES3_S3_EEv20rocsparse_operation_lNS_24const_host_device_scalarIT4_EEPKT0_SA_PKT1_PKT2_PT3_21rocsparse_index_base_b,comdat
.Lfunc_end101:
	.size	_ZN9rocsparseL13coomvt_kernelILj1024Ei21rocsparse_complex_numIfES1_IdES3_S3_EEv20rocsparse_operation_lNS_24const_host_device_scalarIT4_EEPKT0_SA_PKT1_PKT2_PT3_21rocsparse_index_base_b, .Lfunc_end101-_ZN9rocsparseL13coomvt_kernelILj1024Ei21rocsparse_complex_numIfES1_IdES3_S3_EEv20rocsparse_operation_lNS_24const_host_device_scalarIT4_EEPKT0_SA_PKT1_PKT2_PT3_21rocsparse_index_base_b
                                        ; -- End function
	.set _ZN9rocsparseL13coomvt_kernelILj1024Ei21rocsparse_complex_numIfES1_IdES3_S3_EEv20rocsparse_operation_lNS_24const_host_device_scalarIT4_EEPKT0_SA_PKT1_PKT2_PT3_21rocsparse_index_base_b.num_vgpr, 15
	.set _ZN9rocsparseL13coomvt_kernelILj1024Ei21rocsparse_complex_numIfES1_IdES3_S3_EEv20rocsparse_operation_lNS_24const_host_device_scalarIT4_EEPKT0_SA_PKT1_PKT2_PT3_21rocsparse_index_base_b.num_agpr, 0
	.set _ZN9rocsparseL13coomvt_kernelILj1024Ei21rocsparse_complex_numIfES1_IdES3_S3_EEv20rocsparse_operation_lNS_24const_host_device_scalarIT4_EEPKT0_SA_PKT1_PKT2_PT3_21rocsparse_index_base_b.numbered_sgpr, 20
	.set _ZN9rocsparseL13coomvt_kernelILj1024Ei21rocsparse_complex_numIfES1_IdES3_S3_EEv20rocsparse_operation_lNS_24const_host_device_scalarIT4_EEPKT0_SA_PKT1_PKT2_PT3_21rocsparse_index_base_b.num_named_barrier, 0
	.set _ZN9rocsparseL13coomvt_kernelILj1024Ei21rocsparse_complex_numIfES1_IdES3_S3_EEv20rocsparse_operation_lNS_24const_host_device_scalarIT4_EEPKT0_SA_PKT1_PKT2_PT3_21rocsparse_index_base_b.private_seg_size, 0
	.set _ZN9rocsparseL13coomvt_kernelILj1024Ei21rocsparse_complex_numIfES1_IdES3_S3_EEv20rocsparse_operation_lNS_24const_host_device_scalarIT4_EEPKT0_SA_PKT1_PKT2_PT3_21rocsparse_index_base_b.uses_vcc, 1
	.set _ZN9rocsparseL13coomvt_kernelILj1024Ei21rocsparse_complex_numIfES1_IdES3_S3_EEv20rocsparse_operation_lNS_24const_host_device_scalarIT4_EEPKT0_SA_PKT1_PKT2_PT3_21rocsparse_index_base_b.uses_flat_scratch, 0
	.set _ZN9rocsparseL13coomvt_kernelILj1024Ei21rocsparse_complex_numIfES1_IdES3_S3_EEv20rocsparse_operation_lNS_24const_host_device_scalarIT4_EEPKT0_SA_PKT1_PKT2_PT3_21rocsparse_index_base_b.has_dyn_sized_stack, 0
	.set _ZN9rocsparseL13coomvt_kernelILj1024Ei21rocsparse_complex_numIfES1_IdES3_S3_EEv20rocsparse_operation_lNS_24const_host_device_scalarIT4_EEPKT0_SA_PKT1_PKT2_PT3_21rocsparse_index_base_b.has_recursion, 0
	.set _ZN9rocsparseL13coomvt_kernelILj1024Ei21rocsparse_complex_numIfES1_IdES3_S3_EEv20rocsparse_operation_lNS_24const_host_device_scalarIT4_EEPKT0_SA_PKT1_PKT2_PT3_21rocsparse_index_base_b.has_indirect_call, 0
	.section	.AMDGPU.csdata,"",@progbits
; Kernel info:
; codeLenInByte = 440
; TotalNumSgprs: 22
; NumVgprs: 15
; ScratchSize: 0
; MemoryBound: 0
; FloatMode: 240
; IeeeMode: 1
; LDSByteSize: 0 bytes/workgroup (compile time only)
; SGPRBlocks: 0
; VGPRBlocks: 0
; NumSGPRsForWavesPerEU: 22
; NumVGPRsForWavesPerEU: 15
; NamedBarCnt: 0
; Occupancy: 16
; WaveLimiterHint : 1
; COMPUTE_PGM_RSRC2:SCRATCH_EN: 0
; COMPUTE_PGM_RSRC2:USER_SGPR: 2
; COMPUTE_PGM_RSRC2:TRAP_HANDLER: 0
; COMPUTE_PGM_RSRC2:TGID_X_EN: 1
; COMPUTE_PGM_RSRC2:TGID_Y_EN: 0
; COMPUTE_PGM_RSRC2:TGID_Z_EN: 0
; COMPUTE_PGM_RSRC2:TIDIG_COMP_CNT: 0
	.section	.text._ZN9rocsparseL19coomvn_atomic_loopsILj256ELj1Ei21rocsparse_complex_numIfES1_IdES3_S3_EEvlNS_24const_host_device_scalarIT5_EEPKT1_S9_PKT2_PKT3_PT4_21rocsparse_index_base_b,"axG",@progbits,_ZN9rocsparseL19coomvn_atomic_loopsILj256ELj1Ei21rocsparse_complex_numIfES1_IdES3_S3_EEvlNS_24const_host_device_scalarIT5_EEPKT1_S9_PKT2_PKT3_PT4_21rocsparse_index_base_b,comdat
	.globl	_ZN9rocsparseL19coomvn_atomic_loopsILj256ELj1Ei21rocsparse_complex_numIfES1_IdES3_S3_EEvlNS_24const_host_device_scalarIT5_EEPKT1_S9_PKT2_PKT3_PT4_21rocsparse_index_base_b ; -- Begin function _ZN9rocsparseL19coomvn_atomic_loopsILj256ELj1Ei21rocsparse_complex_numIfES1_IdES3_S3_EEvlNS_24const_host_device_scalarIT5_EEPKT1_S9_PKT2_PKT3_PT4_21rocsparse_index_base_b
	.p2align	8
	.type	_ZN9rocsparseL19coomvn_atomic_loopsILj256ELj1Ei21rocsparse_complex_numIfES1_IdES3_S3_EEvlNS_24const_host_device_scalarIT5_EEPKT1_S9_PKT2_PKT3_PT4_21rocsparse_index_base_b,@function
_ZN9rocsparseL19coomvn_atomic_loopsILj256ELj1Ei21rocsparse_complex_numIfES1_IdES3_S3_EEvlNS_24const_host_device_scalarIT5_EEPKT1_S9_PKT2_PKT3_PT4_21rocsparse_index_base_b: ; @_ZN9rocsparseL19coomvn_atomic_loopsILj256ELj1Ei21rocsparse_complex_numIfES1_IdES3_S3_EEvlNS_24const_host_device_scalarIT5_EEPKT1_S9_PKT2_PKT3_PT4_21rocsparse_index_base_b
; %bb.0:
	s_clause 0x1
	s_load_b64 s[8:9], s[0:1], 0x40
	s_load_b128 s[4:7], s[0:1], 0x0
	v_mov_b32_e32 v13, 0
	s_or_b64 s[2:3], s[0:1], 8
	s_wait_kmcnt 0x0
	s_bitcmp1_b32 s9, 0
	s_cselect_b32 s3, s3, s7
	s_cselect_b32 s2, s2, s6
	flat_load_b128 v[2:5], v13, s[2:3]
	s_wait_loadcnt_dscnt 0x0
	v_cmp_neq_f64_e32 vcc_lo, 0, v[2:3]
	v_cmp_neq_f64_e64 s2, 0, v[4:5]
	s_or_b32 s2, vcc_lo, s2
	s_delay_alu instid0(SALU_CYCLE_1)
	s_and_saveexec_b32 s3, s2
	s_cbranch_execz .LBB102_40
; %bb.1:
	s_bfe_u32 s2, ttmp6, 0x4000c
	v_mov_b64_e32 v[6:7], 0
	s_add_co_i32 s2, s2, 1
	s_and_b32 s3, ttmp6, 15
	s_mul_i32 s2, ttmp9, s2
	s_getreg_b32 s6, hwreg(HW_REG_IB_STS2, 6, 4)
	s_add_co_i32 s3, s3, s2
	s_cmp_eq_u32 s6, 0
	v_mov_b64_e32 v[8:9], v[6:7]
	s_cselect_b32 s2, ttmp9, s3
	v_mov_b32_e32 v10, -1
	v_lshl_or_b32 v12, s2, 8, v0
	s_mov_b32 s2, exec_lo
	s_delay_alu instid0(VALU_DEP_1)
	v_cmpx_gt_i64_e64 s[4:5], v[12:13]
	s_cbranch_execz .LBB102_3
; %bb.2:
	s_load_b256 s[12:19], s[0:1], 0x18
	v_lshlrev_b64_e32 v[6:7], 2, v[12:13]
	s_wait_kmcnt 0x0
	s_delay_alu instid0(VALU_DEP_1)
	v_add_nc_u64_e32 v[8:9], s[14:15], v[6:7]
	v_add_nc_u64_e32 v[6:7], s[12:13], v[6:7]
	global_load_b32 v1, v[8:9], off th:TH_LOAD_NT
	s_wait_xcnt 0x0
	v_lshl_add_u64 v[8:9], v[12:13], 3, s[16:17]
	global_load_b64 v[8:9], v[8:9], off th:TH_LOAD_NT
	s_wait_loadcnt 0x1
	v_subrev_nc_u32_e32 v1, s8, v1
	global_load_b128 v[10:13], v1, s[18:19] scale_offset
	global_load_b32 v1, v[6:7], off th:TH_LOAD_NT
	s_wait_loadcnt 0x2
	v_cvt_f64_f32_e32 v[14:15], v9
	v_cvt_f64_f32_e32 v[16:17], v8
	s_wait_loadcnt 0x1
	s_wait_xcnt 0x0
	s_delay_alu instid0(VALU_DEP_2) | instskip(NEXT) | instid1(VALU_DEP_2)
	v_mul_f64_e64 v[6:7], v[12:13], -v[14:15]
	v_mul_f64_e32 v[8:9], v[12:13], v[16:17]
	s_delay_alu instid0(VALU_DEP_2) | instskip(NEXT) | instid1(VALU_DEP_2)
	v_fmac_f64_e32 v[6:7], v[16:17], v[10:11]
	v_fmac_f64_e32 v[8:9], v[14:15], v[10:11]
	s_wait_loadcnt 0x0
	v_subrev_nc_u32_e32 v10, s8, v1
.LBB102_3:
	s_or_b32 exec_lo, exec_lo, s2
	v_dual_lshlrev_b32 v12, 2, v0 :: v_dual_lshlrev_b32 v11, 4, v0
	s_mov_b32 s2, exec_lo
	ds_store_b32 v12, v10 offset:4096
	ds_store_b128 v11, v[6:9]
	v_or_b32_e32 v1, 0x1000, v12
	s_wait_dscnt 0x0
	s_barrier_signal -1
	s_barrier_wait -1
	v_cmpx_ne_u32_e32 0, v0
	s_cbranch_execz .LBB102_7
; %bb.4:
	v_add_nc_u32_e32 v12, -4, v1
	s_mov_b32 s3, exec_lo
	ds_load_b32 v12, v12
	s_wait_dscnt 0x0
	v_cmpx_eq_u32_e64 v10, v12
	s_cbranch_execz .LBB102_6
; %bb.5:
	v_add_nc_u32_e32 v12, -16, v11
	ds_load_b128 v[12:15], v12
	s_wait_dscnt 0x0
	v_add_f64_e32 v[6:7], v[6:7], v[12:13]
	v_add_f64_e32 v[8:9], v[8:9], v[14:15]
.LBB102_6:
	s_or_b32 exec_lo, exec_lo, s3
.LBB102_7:
	s_delay_alu instid0(SALU_CYCLE_1) | instskip(NEXT) | instid1(SALU_CYCLE_1)
	s_or_b32 exec_lo, exec_lo, s2
	s_mov_b32 s2, exec_lo
	s_barrier_signal -1
	s_barrier_wait -1
	ds_store_b128 v11, v[6:9]
	s_wait_dscnt 0x0
	s_barrier_signal -1
	s_barrier_wait -1
	v_cmpx_lt_u32_e32 1, v0
	s_cbranch_execz .LBB102_11
; %bb.8:
	v_add_nc_u32_e32 v12, -8, v1
	s_mov_b32 s3, exec_lo
	ds_load_b32 v12, v12
	s_wait_dscnt 0x0
	v_cmpx_eq_u32_e64 v10, v12
	s_cbranch_execz .LBB102_10
; %bb.9:
	v_subrev_nc_u32_e32 v12, 32, v11
	ds_load_b128 v[12:15], v12
	s_wait_dscnt 0x0
	v_add_f64_e32 v[6:7], v[6:7], v[12:13]
	v_add_f64_e32 v[8:9], v[8:9], v[14:15]
.LBB102_10:
	s_or_b32 exec_lo, exec_lo, s3
.LBB102_11:
	s_delay_alu instid0(SALU_CYCLE_1) | instskip(NEXT) | instid1(SALU_CYCLE_1)
	s_or_b32 exec_lo, exec_lo, s2
	s_mov_b32 s2, exec_lo
	s_barrier_signal -1
	s_barrier_wait -1
	ds_store_b128 v11, v[6:9]
	s_wait_dscnt 0x0
	s_barrier_signal -1
	s_barrier_wait -1
	v_cmpx_lt_u32_e32 3, v0
	s_cbranch_execz .LBB102_15
; %bb.12:
	v_add_nc_u32_e32 v12, -16, v1
	s_mov_b32 s3, exec_lo
	ds_load_b32 v12, v12
	s_wait_dscnt 0x0
	v_cmpx_eq_u32_e64 v10, v12
	s_cbranch_execz .LBB102_14
; %bb.13:
	v_subrev_nc_u32_e32 v12, 64, v11
	ds_load_b128 v[12:15], v12
	s_wait_dscnt 0x0
	v_add_f64_e32 v[6:7], v[6:7], v[12:13]
	v_add_f64_e32 v[8:9], v[8:9], v[14:15]
.LBB102_14:
	s_or_b32 exec_lo, exec_lo, s3
.LBB102_15:
	s_delay_alu instid0(SALU_CYCLE_1) | instskip(NEXT) | instid1(SALU_CYCLE_1)
	s_or_b32 exec_lo, exec_lo, s2
	s_mov_b32 s2, exec_lo
	s_barrier_signal -1
	s_barrier_wait -1
	ds_store_b128 v11, v[6:9]
	s_wait_dscnt 0x0
	s_barrier_signal -1
	s_barrier_wait -1
	v_cmpx_lt_u32_e32 7, v0
	s_cbranch_execz .LBB102_19
; %bb.16:
	v_subrev_nc_u32_e32 v12, 32, v1
	s_mov_b32 s3, exec_lo
	ds_load_b32 v12, v12
	s_wait_dscnt 0x0
	v_cmpx_eq_u32_e64 v10, v12
	s_cbranch_execz .LBB102_18
; %bb.17:
	v_add_nc_u32_e32 v12, 0xffffff80, v11
	ds_load_b128 v[12:15], v12
	s_wait_dscnt 0x0
	v_add_f64_e32 v[6:7], v[6:7], v[12:13]
	v_add_f64_e32 v[8:9], v[8:9], v[14:15]
.LBB102_18:
	s_or_b32 exec_lo, exec_lo, s3
.LBB102_19:
	s_delay_alu instid0(SALU_CYCLE_1) | instskip(NEXT) | instid1(SALU_CYCLE_1)
	s_or_b32 exec_lo, exec_lo, s2
	s_mov_b32 s2, exec_lo
	s_barrier_signal -1
	s_barrier_wait -1
	ds_store_b128 v11, v[6:9]
	s_wait_dscnt 0x0
	s_barrier_signal -1
	s_barrier_wait -1
	v_cmpx_lt_u32_e32 15, v0
	s_cbranch_execz .LBB102_23
; %bb.20:
	v_subrev_nc_u32_e32 v12, 64, v1
	s_mov_b32 s3, exec_lo
	ds_load_b32 v12, v12
	s_wait_dscnt 0x0
	v_cmpx_eq_u32_e64 v10, v12
	s_cbranch_execz .LBB102_22
; %bb.21:
	v_add_nc_u32_e32 v12, 0xffffff00, v11
	ds_load_b128 v[12:15], v12
	s_wait_dscnt 0x0
	v_add_f64_e32 v[6:7], v[6:7], v[12:13]
	v_add_f64_e32 v[8:9], v[8:9], v[14:15]
.LBB102_22:
	s_or_b32 exec_lo, exec_lo, s3
.LBB102_23:
	s_delay_alu instid0(SALU_CYCLE_1) | instskip(NEXT) | instid1(SALU_CYCLE_1)
	s_or_b32 exec_lo, exec_lo, s2
	s_mov_b32 s2, exec_lo
	s_barrier_signal -1
	s_barrier_wait -1
	ds_store_b128 v11, v[6:9]
	s_wait_dscnt 0x0
	s_barrier_signal -1
	s_barrier_wait -1
	v_cmpx_lt_u32_e32 31, v0
	s_cbranch_execz .LBB102_27
; %bb.24:
	v_add_nc_u32_e32 v12, 0xffffff80, v1
	s_mov_b32 s3, exec_lo
	ds_load_b32 v12, v12
	s_wait_dscnt 0x0
	v_cmpx_eq_u32_e64 v10, v12
	s_cbranch_execz .LBB102_26
; %bb.25:
	v_add_nc_u32_e32 v12, 0xfffffe00, v11
	ds_load_b128 v[12:15], v12
	s_wait_dscnt 0x0
	v_add_f64_e32 v[6:7], v[6:7], v[12:13]
	v_add_f64_e32 v[8:9], v[8:9], v[14:15]
.LBB102_26:
	s_or_b32 exec_lo, exec_lo, s3
.LBB102_27:
	s_delay_alu instid0(SALU_CYCLE_1) | instskip(NEXT) | instid1(SALU_CYCLE_1)
	s_or_b32 exec_lo, exec_lo, s2
	s_mov_b32 s2, exec_lo
	s_barrier_signal -1
	s_barrier_wait -1
	ds_store_b128 v11, v[6:9]
	s_wait_dscnt 0x0
	s_barrier_signal -1
	s_barrier_wait -1
	v_cmpx_lt_u32_e32 63, v0
	s_cbranch_execz .LBB102_31
; %bb.28:
	v_add_nc_u32_e32 v12, 0xffffff00, v1
	s_mov_b32 s3, exec_lo
	ds_load_b32 v12, v12
	s_wait_dscnt 0x0
	v_cmpx_eq_u32_e64 v10, v12
	s_cbranch_execz .LBB102_30
; %bb.29:
	v_add_nc_u32_e32 v12, 0xfffffc00, v11
	ds_load_b128 v[12:15], v12
	s_wait_dscnt 0x0
	v_add_f64_e32 v[6:7], v[6:7], v[12:13]
	v_add_f64_e32 v[8:9], v[8:9], v[14:15]
.LBB102_30:
	s_or_b32 exec_lo, exec_lo, s3
.LBB102_31:
	s_delay_alu instid0(SALU_CYCLE_1)
	s_or_b32 exec_lo, exec_lo, s2
	s_load_b64 s[2:3], s[0:1], 0x38
	s_wait_xcnt 0x0
	s_mov_b32 s0, exec_lo
	s_barrier_signal -1
	s_barrier_wait -1
	ds_store_b128 v11, v[6:9]
	s_wait_dscnt 0x0
	s_barrier_signal -1
	s_barrier_wait -1
	v_cmpx_lt_u32_e32 0x7f, v0
	s_cbranch_execz .LBB102_35
; %bb.32:
	v_add_nc_u32_e32 v12, 0xfffffe00, v1
	s_mov_b32 s1, exec_lo
	ds_load_b32 v12, v12
	s_wait_dscnt 0x0
	v_cmpx_eq_u32_e64 v10, v12
	s_cbranch_execz .LBB102_34
; %bb.33:
	v_add_nc_u32_e32 v12, 0xfffff800, v11
	ds_load_b128 v[12:15], v12
	s_wait_dscnt 0x0
	v_add_f64_e32 v[6:7], v[6:7], v[12:13]
	v_add_f64_e32 v[8:9], v[8:9], v[14:15]
.LBB102_34:
	s_or_b32 exec_lo, exec_lo, s1
.LBB102_35:
	s_delay_alu instid0(SALU_CYCLE_1) | instskip(NEXT) | instid1(SALU_CYCLE_1)
	s_or_b32 exec_lo, exec_lo, s0
	s_mov_b32 s1, exec_lo
	s_barrier_signal -1
	s_barrier_wait -1
	ds_store_b128 v11, v[6:9]
	s_wait_dscnt 0x0
	s_barrier_signal -1
	s_barrier_wait -1
	v_cmpx_gt_u32_e32 0xff, v0
	s_cbranch_execz .LBB102_38
; %bb.36:
	ds_load_b32 v1, v1 offset:4
	v_cmp_lt_i32_e64 s0, -1, v10
	s_wait_dscnt 0x0
	v_cmp_ne_u32_e32 vcc_lo, v10, v1
	s_and_b32 s0, s0, vcc_lo
	s_delay_alu instid0(SALU_CYCLE_1)
	s_and_b32 exec_lo, exec_lo, s0
	s_cbranch_execz .LBB102_38
; %bb.37:
	v_dual_mul_f64 v[12:13], v[8:9], -v[4:5] :: v_dual_mov_b32 v11, 0
	v_mul_f64_e32 v[14:15], v[2:3], v[8:9]
	s_wait_kmcnt 0x0
	s_delay_alu instid0(VALU_DEP_2) | instskip(NEXT) | instid1(VALU_DEP_3)
	v_lshl_add_u64 v[16:17], v[10:11], 4, s[2:3]
	v_fmac_f64_e32 v[12:13], v[2:3], v[6:7]
	s_delay_alu instid0(VALU_DEP_3)
	v_fmac_f64_e32 v[14:15], v[4:5], v[6:7]
	global_atomic_add_f64 v[16:17], v[12:13], off scope:SCOPE_DEV
	s_wait_xcnt 0x0
	global_atomic_add_f64 v[16:17], v[14:15], off offset:8 scope:SCOPE_DEV
.LBB102_38:
	s_wait_xcnt 0x0
	s_or_b32 exec_lo, exec_lo, s1
	v_cmp_eq_u32_e32 vcc_lo, 0xff, v0
	v_cmp_lt_i32_e64 s0, -1, v10
	s_and_b32 s0, vcc_lo, s0
	s_delay_alu instid0(SALU_CYCLE_1)
	s_and_b32 exec_lo, exec_lo, s0
	s_cbranch_execz .LBB102_40
; %bb.39:
	v_dual_mul_f64 v[0:1], v[8:9], -v[4:5] :: v_dual_mov_b32 v11, 0
	v_mul_f64_e32 v[8:9], v[2:3], v[8:9]
	s_delay_alu instid0(VALU_DEP_2) | instskip(SKIP_1) | instid1(VALU_DEP_3)
	v_fmac_f64_e32 v[0:1], v[2:3], v[6:7]
	s_wait_kmcnt 0x0
	v_lshl_add_u64 v[2:3], v[10:11], 4, s[2:3]
	s_delay_alu instid0(VALU_DEP_3)
	v_fmac_f64_e32 v[8:9], v[4:5], v[6:7]
	global_atomic_add_f64 v[2:3], v[0:1], off scope:SCOPE_DEV
	s_wait_xcnt 0x0
	global_atomic_add_f64 v[2:3], v[8:9], off offset:8 scope:SCOPE_DEV
.LBB102_40:
	s_endpgm
	.section	.rodata,"a",@progbits
	.p2align	6, 0x0
	.amdhsa_kernel _ZN9rocsparseL19coomvn_atomic_loopsILj256ELj1Ei21rocsparse_complex_numIfES1_IdES3_S3_EEvlNS_24const_host_device_scalarIT5_EEPKT1_S9_PKT2_PKT3_PT4_21rocsparse_index_base_b
		.amdhsa_group_segment_fixed_size 5120
		.amdhsa_private_segment_fixed_size 0
		.amdhsa_kernarg_size 72
		.amdhsa_user_sgpr_count 2
		.amdhsa_user_sgpr_dispatch_ptr 0
		.amdhsa_user_sgpr_queue_ptr 0
		.amdhsa_user_sgpr_kernarg_segment_ptr 1
		.amdhsa_user_sgpr_dispatch_id 0
		.amdhsa_user_sgpr_kernarg_preload_length 0
		.amdhsa_user_sgpr_kernarg_preload_offset 0
		.amdhsa_user_sgpr_private_segment_size 0
		.amdhsa_wavefront_size32 1
		.amdhsa_uses_dynamic_stack 0
		.amdhsa_enable_private_segment 0
		.amdhsa_system_sgpr_workgroup_id_x 1
		.amdhsa_system_sgpr_workgroup_id_y 0
		.amdhsa_system_sgpr_workgroup_id_z 0
		.amdhsa_system_sgpr_workgroup_info 0
		.amdhsa_system_vgpr_workitem_id 0
		.amdhsa_next_free_vgpr 18
		.amdhsa_next_free_sgpr 20
		.amdhsa_named_barrier_count 0
		.amdhsa_reserve_vcc 1
		.amdhsa_float_round_mode_32 0
		.amdhsa_float_round_mode_16_64 0
		.amdhsa_float_denorm_mode_32 3
		.amdhsa_float_denorm_mode_16_64 3
		.amdhsa_fp16_overflow 0
		.amdhsa_memory_ordered 1
		.amdhsa_forward_progress 1
		.amdhsa_inst_pref_size 12
		.amdhsa_round_robin_scheduling 0
		.amdhsa_exception_fp_ieee_invalid_op 0
		.amdhsa_exception_fp_denorm_src 0
		.amdhsa_exception_fp_ieee_div_zero 0
		.amdhsa_exception_fp_ieee_overflow 0
		.amdhsa_exception_fp_ieee_underflow 0
		.amdhsa_exception_fp_ieee_inexact 0
		.amdhsa_exception_int_div_zero 0
	.end_amdhsa_kernel
	.section	.text._ZN9rocsparseL19coomvn_atomic_loopsILj256ELj1Ei21rocsparse_complex_numIfES1_IdES3_S3_EEvlNS_24const_host_device_scalarIT5_EEPKT1_S9_PKT2_PKT3_PT4_21rocsparse_index_base_b,"axG",@progbits,_ZN9rocsparseL19coomvn_atomic_loopsILj256ELj1Ei21rocsparse_complex_numIfES1_IdES3_S3_EEvlNS_24const_host_device_scalarIT5_EEPKT1_S9_PKT2_PKT3_PT4_21rocsparse_index_base_b,comdat
.Lfunc_end102:
	.size	_ZN9rocsparseL19coomvn_atomic_loopsILj256ELj1Ei21rocsparse_complex_numIfES1_IdES3_S3_EEvlNS_24const_host_device_scalarIT5_EEPKT1_S9_PKT2_PKT3_PT4_21rocsparse_index_base_b, .Lfunc_end102-_ZN9rocsparseL19coomvn_atomic_loopsILj256ELj1Ei21rocsparse_complex_numIfES1_IdES3_S3_EEvlNS_24const_host_device_scalarIT5_EEPKT1_S9_PKT2_PKT3_PT4_21rocsparse_index_base_b
                                        ; -- End function
	.set _ZN9rocsparseL19coomvn_atomic_loopsILj256ELj1Ei21rocsparse_complex_numIfES1_IdES3_S3_EEvlNS_24const_host_device_scalarIT5_EEPKT1_S9_PKT2_PKT3_PT4_21rocsparse_index_base_b.num_vgpr, 18
	.set _ZN9rocsparseL19coomvn_atomic_loopsILj256ELj1Ei21rocsparse_complex_numIfES1_IdES3_S3_EEvlNS_24const_host_device_scalarIT5_EEPKT1_S9_PKT2_PKT3_PT4_21rocsparse_index_base_b.num_agpr, 0
	.set _ZN9rocsparseL19coomvn_atomic_loopsILj256ELj1Ei21rocsparse_complex_numIfES1_IdES3_S3_EEvlNS_24const_host_device_scalarIT5_EEPKT1_S9_PKT2_PKT3_PT4_21rocsparse_index_base_b.numbered_sgpr, 20
	.set _ZN9rocsparseL19coomvn_atomic_loopsILj256ELj1Ei21rocsparse_complex_numIfES1_IdES3_S3_EEvlNS_24const_host_device_scalarIT5_EEPKT1_S9_PKT2_PKT3_PT4_21rocsparse_index_base_b.num_named_barrier, 0
	.set _ZN9rocsparseL19coomvn_atomic_loopsILj256ELj1Ei21rocsparse_complex_numIfES1_IdES3_S3_EEvlNS_24const_host_device_scalarIT5_EEPKT1_S9_PKT2_PKT3_PT4_21rocsparse_index_base_b.private_seg_size, 0
	.set _ZN9rocsparseL19coomvn_atomic_loopsILj256ELj1Ei21rocsparse_complex_numIfES1_IdES3_S3_EEvlNS_24const_host_device_scalarIT5_EEPKT1_S9_PKT2_PKT3_PT4_21rocsparse_index_base_b.uses_vcc, 1
	.set _ZN9rocsparseL19coomvn_atomic_loopsILj256ELj1Ei21rocsparse_complex_numIfES1_IdES3_S3_EEvlNS_24const_host_device_scalarIT5_EEPKT1_S9_PKT2_PKT3_PT4_21rocsparse_index_base_b.uses_flat_scratch, 0
	.set _ZN9rocsparseL19coomvn_atomic_loopsILj256ELj1Ei21rocsparse_complex_numIfES1_IdES3_S3_EEvlNS_24const_host_device_scalarIT5_EEPKT1_S9_PKT2_PKT3_PT4_21rocsparse_index_base_b.has_dyn_sized_stack, 0
	.set _ZN9rocsparseL19coomvn_atomic_loopsILj256ELj1Ei21rocsparse_complex_numIfES1_IdES3_S3_EEvlNS_24const_host_device_scalarIT5_EEPKT1_S9_PKT2_PKT3_PT4_21rocsparse_index_base_b.has_recursion, 0
	.set _ZN9rocsparseL19coomvn_atomic_loopsILj256ELj1Ei21rocsparse_complex_numIfES1_IdES3_S3_EEvlNS_24const_host_device_scalarIT5_EEPKT1_S9_PKT2_PKT3_PT4_21rocsparse_index_base_b.has_indirect_call, 0
	.section	.AMDGPU.csdata,"",@progbits
; Kernel info:
; codeLenInByte = 1524
; TotalNumSgprs: 22
; NumVgprs: 18
; ScratchSize: 0
; MemoryBound: 0
; FloatMode: 240
; IeeeMode: 1
; LDSByteSize: 5120 bytes/workgroup (compile time only)
; SGPRBlocks: 0
; VGPRBlocks: 1
; NumSGPRsForWavesPerEU: 22
; NumVGPRsForWavesPerEU: 18
; NamedBarCnt: 0
; Occupancy: 16
; WaveLimiterHint : 1
; COMPUTE_PGM_RSRC2:SCRATCH_EN: 0
; COMPUTE_PGM_RSRC2:USER_SGPR: 2
; COMPUTE_PGM_RSRC2:TRAP_HANDLER: 0
; COMPUTE_PGM_RSRC2:TGID_X_EN: 1
; COMPUTE_PGM_RSRC2:TGID_Y_EN: 0
; COMPUTE_PGM_RSRC2:TGID_Z_EN: 0
; COMPUTE_PGM_RSRC2:TIDIG_COMP_CNT: 0
	.section	.text._ZN9rocsparseL19coomvn_atomic_loopsILj256ELj2Ei21rocsparse_complex_numIfES1_IdES3_S3_EEvlNS_24const_host_device_scalarIT5_EEPKT1_S9_PKT2_PKT3_PT4_21rocsparse_index_base_b,"axG",@progbits,_ZN9rocsparseL19coomvn_atomic_loopsILj256ELj2Ei21rocsparse_complex_numIfES1_IdES3_S3_EEvlNS_24const_host_device_scalarIT5_EEPKT1_S9_PKT2_PKT3_PT4_21rocsparse_index_base_b,comdat
	.globl	_ZN9rocsparseL19coomvn_atomic_loopsILj256ELj2Ei21rocsparse_complex_numIfES1_IdES3_S3_EEvlNS_24const_host_device_scalarIT5_EEPKT1_S9_PKT2_PKT3_PT4_21rocsparse_index_base_b ; -- Begin function _ZN9rocsparseL19coomvn_atomic_loopsILj256ELj2Ei21rocsparse_complex_numIfES1_IdES3_S3_EEvlNS_24const_host_device_scalarIT5_EEPKT1_S9_PKT2_PKT3_PT4_21rocsparse_index_base_b
	.p2align	8
	.type	_ZN9rocsparseL19coomvn_atomic_loopsILj256ELj2Ei21rocsparse_complex_numIfES1_IdES3_S3_EEvlNS_24const_host_device_scalarIT5_EEPKT1_S9_PKT2_PKT3_PT4_21rocsparse_index_base_b,@function
_ZN9rocsparseL19coomvn_atomic_loopsILj256ELj2Ei21rocsparse_complex_numIfES1_IdES3_S3_EEvlNS_24const_host_device_scalarIT5_EEPKT1_S9_PKT2_PKT3_PT4_21rocsparse_index_base_b: ; @_ZN9rocsparseL19coomvn_atomic_loopsILj256ELj2Ei21rocsparse_complex_numIfES1_IdES3_S3_EEvlNS_24const_host_device_scalarIT5_EEPKT1_S9_PKT2_PKT3_PT4_21rocsparse_index_base_b
; %bb.0:
	s_clause 0x1
	s_load_b64 s[24:25], s[0:1], 0x40
	s_load_b128 s[20:23], s[0:1], 0x0
	v_mov_b32_e32 v11, 0
	s_or_b64 s[2:3], s[0:1], 8
	s_wait_kmcnt 0x0
	s_bitcmp1_b32 s25, 0
	s_cselect_b32 s3, s3, s23
	s_cselect_b32 s2, s2, s22
	flat_load_b128 v[2:5], v11, s[2:3]
	s_wait_loadcnt_dscnt 0x0
	v_cmp_neq_f64_e32 vcc_lo, 0, v[2:3]
	v_cmp_neq_f64_e64 s2, 0, v[4:5]
	s_or_b32 s2, vcc_lo, s2
	s_delay_alu instid0(SALU_CYCLE_1)
	s_and_saveexec_b32 s3, s2
	s_cbranch_execz .LBB103_92
; %bb.1:
	s_load_b256 s[12:19], s[0:1], 0x18
	s_bfe_u32 s2, ttmp6, 0x4000c
	s_and_b32 s3, ttmp6, 15
	s_add_co_i32 s2, s2, 1
	s_getreg_b32 s4, hwreg(HW_REG_IB_STS2, 6, 4)
	s_mul_i32 s2, ttmp9, s2
	v_mov_b64_e32 v[6:7], 0
	s_add_co_i32 s3, s3, s2
	s_cmp_eq_u32 s4, 0
	v_mov_b32_e32 v14, -1
	s_cselect_b32 s2, ttmp9, s3
	s_delay_alu instid0(SALU_CYCLE_1) | instskip(NEXT) | instid1(VALU_DEP_3)
	v_lshl_or_b32 v10, s2, 9, v0
	v_mov_b64_e32 v[8:9], v[6:7]
	s_mov_b32 s2, exec_lo
	s_delay_alu instid0(VALU_DEP_2)
	v_lshlrev_b64_e32 v[12:13], 2, v[10:11]
	s_wait_kmcnt 0x0
	v_lshl_add_u64 v[16:17], v[10:11], 3, s[16:17]
	v_cmpx_gt_i64_e64 s[20:21], v[10:11]
	s_cbranch_execz .LBB103_3
; %bb.2:
	s_delay_alu instid0(VALU_DEP_3)
	v_add_nc_u64_e32 v[6:7], s[14:15], v[12:13]
	global_load_b32 v1, v[6:7], off th:TH_LOAD_NT
	global_load_b64 v[8:9], v[16:17], off th:TH_LOAD_NT
	s_wait_xcnt 0x1
	v_add_nc_u64_e32 v[6:7], s[12:13], v[12:13]
	s_wait_loadcnt 0x1
	v_subrev_nc_u32_e32 v1, s24, v1
	s_wait_loadcnt 0x0
	v_cvt_f64_f32_e32 v[14:15], v9
	v_cvt_f64_f32_e32 v[22:23], v8
	global_load_b128 v[18:21], v1, s[18:19] scale_offset
	global_load_b32 v1, v[6:7], off th:TH_LOAD_NT
	s_wait_loadcnt 0x1
	s_wait_xcnt 0x0
	v_mul_f64_e64 v[6:7], v[20:21], -v[14:15]
	v_mul_f64_e32 v[8:9], v[20:21], v[22:23]
	s_delay_alu instid0(VALU_DEP_2) | instskip(NEXT) | instid1(VALU_DEP_2)
	v_fmac_f64_e32 v[6:7], v[22:23], v[18:19]
	v_fmac_f64_e32 v[8:9], v[14:15], v[18:19]
	s_wait_loadcnt 0x0
	v_subrev_nc_u32_e32 v14, s24, v1
.LBB103_3:
	s_or_b32 exec_lo, exec_lo, s2
	v_dual_lshlrev_b32 v15, 2, v0 :: v_dual_lshlrev_b32 v20, 4, v0
	v_cmp_eq_u32_e64 s8, 0, v0
	v_cmp_ne_u32_e32 vcc_lo, 0, v0
	ds_store_b32 v15, v14 offset:4096
	ds_store_b128 v20, v[6:9]
	v_or_b32_e32 v1, 0x1000, v15
	s_wait_dscnt 0x0
	s_barrier_signal -1
	s_barrier_wait -1
	s_delay_alu instid0(VALU_DEP_1)
	v_add_nc_u32_e32 v21, -4, v1
	s_and_saveexec_b32 s3, vcc_lo
	s_cbranch_execz .LBB103_7
; %bb.4:
	ds_load_b32 v15, v21
	s_mov_b32 s4, exec_lo
	s_wait_dscnt 0x0
	v_cmpx_eq_u32_e64 v14, v15
	s_cbranch_execz .LBB103_6
; %bb.5:
	v_add_nc_u32_e32 v15, -16, v20
	ds_load_b128 v[22:25], v15
	s_wait_dscnt 0x0
	v_add_f64_e32 v[6:7], v[6:7], v[22:23]
	v_add_f64_e32 v[8:9], v[8:9], v[24:25]
.LBB103_6:
	s_or_b32 exec_lo, exec_lo, s4
.LBB103_7:
	s_delay_alu instid0(SALU_CYCLE_1)
	s_or_b32 exec_lo, exec_lo, s3
	v_cmp_lt_u32_e64 s2, 1, v0
	v_add_nc_u32_e32 v22, -8, v1
	s_barrier_signal -1
	s_barrier_wait -1
	ds_store_b128 v20, v[6:9]
	s_wait_dscnt 0x0
	s_barrier_signal -1
	s_barrier_wait -1
	s_and_saveexec_b32 s4, s2
	s_cbranch_execz .LBB103_11
; %bb.8:
	ds_load_b32 v15, v22
	s_mov_b32 s5, exec_lo
	s_wait_dscnt 0x0
	v_cmpx_eq_u32_e64 v14, v15
	s_cbranch_execz .LBB103_10
; %bb.9:
	v_subrev_nc_u32_e32 v15, 32, v20
	ds_load_b128 v[24:27], v15
	s_wait_dscnt 0x0
	v_add_f64_e32 v[6:7], v[6:7], v[24:25]
	v_add_f64_e32 v[8:9], v[8:9], v[26:27]
.LBB103_10:
	s_or_b32 exec_lo, exec_lo, s5
.LBB103_11:
	s_delay_alu instid0(SALU_CYCLE_1)
	s_or_b32 exec_lo, exec_lo, s4
	v_cmp_lt_u32_e64 s3, 3, v0
	v_add_nc_u32_e32 v23, -16, v1
	s_barrier_signal -1
	s_barrier_wait -1
	ds_store_b128 v20, v[6:9]
	s_wait_dscnt 0x0
	s_barrier_signal -1
	s_barrier_wait -1
	s_and_saveexec_b32 s5, s3
	s_cbranch_execz .LBB103_15
; %bb.12:
	ds_load_b32 v15, v23
	s_mov_b32 s6, exec_lo
	s_wait_dscnt 0x0
	v_cmpx_eq_u32_e64 v14, v15
	s_cbranch_execz .LBB103_14
; %bb.13:
	v_subrev_nc_u32_e32 v15, 64, v20
	ds_load_b128 v[24:27], v15
	s_wait_dscnt 0x0
	v_add_f64_e32 v[6:7], v[6:7], v[24:25]
	v_add_f64_e32 v[8:9], v[8:9], v[26:27]
.LBB103_14:
	s_or_b32 exec_lo, exec_lo, s6
.LBB103_15:
	s_delay_alu instid0(SALU_CYCLE_1)
	s_or_b32 exec_lo, exec_lo, s5
	v_cmp_lt_u32_e64 s4, 7, v0
	v_subrev_nc_u32_e32 v24, 32, v1
	s_barrier_signal -1
	s_barrier_wait -1
	ds_store_b128 v20, v[6:9]
	s_wait_dscnt 0x0
	s_barrier_signal -1
	s_barrier_wait -1
	s_and_saveexec_b32 s6, s4
	s_cbranch_execz .LBB103_19
; %bb.16:
	ds_load_b32 v15, v24
	s_mov_b32 s7, exec_lo
	s_wait_dscnt 0x0
	v_cmpx_eq_u32_e64 v14, v15
	s_cbranch_execz .LBB103_18
; %bb.17:
	v_add_nc_u32_e32 v15, 0xffffff80, v20
	ds_load_b128 v[26:29], v15
	s_wait_dscnt 0x0
	v_add_f64_e32 v[6:7], v[6:7], v[26:27]
	v_add_f64_e32 v[8:9], v[8:9], v[28:29]
.LBB103_18:
	s_or_b32 exec_lo, exec_lo, s7
.LBB103_19:
	s_delay_alu instid0(SALU_CYCLE_1)
	s_or_b32 exec_lo, exec_lo, s6
	v_cmp_lt_u32_e64 s5, 15, v0
	v_subrev_nc_u32_e32 v25, 64, v1
	s_barrier_signal -1
	s_barrier_wait -1
	ds_store_b128 v20, v[6:9]
	s_wait_dscnt 0x0
	s_barrier_signal -1
	s_barrier_wait -1
	s_and_saveexec_b32 s7, s5
	s_cbranch_execz .LBB103_23
; %bb.20:
	ds_load_b32 v15, v25
	s_mov_b32 s9, exec_lo
	s_wait_dscnt 0x0
	v_cmpx_eq_u32_e64 v14, v15
	s_cbranch_execz .LBB103_22
; %bb.21:
	v_add_nc_u32_e32 v15, 0xffffff00, v20
	ds_load_b128 v[26:29], v15
	s_wait_dscnt 0x0
	v_add_f64_e32 v[6:7], v[6:7], v[26:27]
	v_add_f64_e32 v[8:9], v[8:9], v[28:29]
.LBB103_22:
	s_or_b32 exec_lo, exec_lo, s9
.LBB103_23:
	s_delay_alu instid0(SALU_CYCLE_1)
	s_or_b32 exec_lo, exec_lo, s7
	v_cmp_lt_u32_e64 s6, 31, v0
	v_add_nc_u32_e32 v26, 0xffffff80, v1
	s_barrier_signal -1
	s_barrier_wait -1
	ds_store_b128 v20, v[6:9]
	s_wait_dscnt 0x0
	s_barrier_signal -1
	s_barrier_wait -1
	s_and_saveexec_b32 s9, s6
	s_cbranch_execz .LBB103_27
; %bb.24:
	ds_load_b32 v15, v26
	s_mov_b32 s10, exec_lo
	s_wait_dscnt 0x0
	v_cmpx_eq_u32_e64 v14, v15
	s_cbranch_execz .LBB103_26
; %bb.25:
	v_add_nc_u32_e32 v15, 0xfffffe00, v20
	ds_load_b128 v[28:31], v15
	s_wait_dscnt 0x0
	v_add_f64_e32 v[6:7], v[6:7], v[28:29]
	v_add_f64_e32 v[8:9], v[8:9], v[30:31]
.LBB103_26:
	s_or_b32 exec_lo, exec_lo, s10
.LBB103_27:
	s_delay_alu instid0(SALU_CYCLE_1)
	s_or_b32 exec_lo, exec_lo, s9
	v_cmp_lt_u32_e64 s7, 63, v0
	v_add_nc_u32_e32 v27, 0xffffff00, v1
	s_barrier_signal -1
	s_barrier_wait -1
	ds_store_b128 v20, v[6:9]
	s_wait_dscnt 0x0
	s_barrier_signal -1
	s_barrier_wait -1
	s_and_saveexec_b32 s10, s7
	s_cbranch_execz .LBB103_31
; %bb.28:
	ds_load_b32 v15, v27
	s_mov_b32 s11, exec_lo
	s_wait_dscnt 0x0
	v_cmpx_eq_u32_e64 v14, v15
	s_cbranch_execz .LBB103_30
; %bb.29:
	v_add_nc_u32_e32 v15, 0xfffffc00, v20
	ds_load_b128 v[28:31], v15
	s_wait_dscnt 0x0
	v_add_f64_e32 v[6:7], v[6:7], v[28:29]
	v_add_f64_e32 v[8:9], v[8:9], v[30:31]
.LBB103_30:
	s_or_b32 exec_lo, exec_lo, s11
.LBB103_31:
	s_delay_alu instid0(SALU_CYCLE_1)
	s_or_b32 exec_lo, exec_lo, s10
	s_load_b64 s[16:17], s[0:1], 0x38
	s_wait_xcnt 0x0
	v_cmp_lt_u32_e64 s0, 0x7f, v0
	v_add_nc_u32_e32 v28, 0xfffffe00, v1
	s_barrier_signal -1
	s_barrier_wait -1
	ds_store_b128 v20, v[6:9]
	s_wait_dscnt 0x0
	s_barrier_signal -1
	s_barrier_wait -1
	s_and_saveexec_b32 s9, s0
	s_cbranch_execz .LBB103_35
; %bb.32:
	ds_load_b32 v15, v28
	s_mov_b32 s10, exec_lo
	s_wait_dscnt 0x0
	v_cmpx_eq_u32_e64 v14, v15
	s_cbranch_execz .LBB103_34
; %bb.33:
	v_add_nc_u32_e32 v15, 0xfffff800, v20
	ds_load_b128 v[30:33], v15
	s_wait_dscnt 0x0
	v_add_f64_e32 v[6:7], v[6:7], v[30:31]
	v_add_f64_e32 v[8:9], v[8:9], v[32:33]
.LBB103_34:
	s_or_b32 exec_lo, exec_lo, s10
.LBB103_35:
	s_delay_alu instid0(SALU_CYCLE_1)
	s_or_b32 exec_lo, exec_lo, s9
	v_cmp_gt_u32_e64 s1, 0xff, v0
	s_barrier_signal -1
	s_barrier_wait -1
	ds_store_b128 v20, v[6:9]
	s_wait_dscnt 0x0
	s_barrier_signal -1
	s_barrier_wait -1
	s_and_saveexec_b32 s11, s1
	s_cbranch_execz .LBB103_38
; %bb.36:
	ds_load_b32 v15, v1 offset:4
	v_cmp_lt_i32_e64 s10, -1, v14
	s_wait_dscnt 0x0
	v_cmp_ne_u32_e64 s9, v14, v15
	s_and_b32 s9, s10, s9
	s_delay_alu instid0(SALU_CYCLE_1)
	s_and_b32 exec_lo, exec_lo, s9
	s_cbranch_execz .LBB103_38
; %bb.37:
	v_dual_mul_f64 v[18:19], v[8:9], -v[4:5] :: v_dual_mov_b32 v15, 0
	v_mul_f64_e32 v[8:9], v[2:3], v[8:9]
	s_delay_alu instid0(VALU_DEP_2) | instskip(NEXT) | instid1(VALU_DEP_2)
	v_fmac_f64_e32 v[18:19], v[2:3], v[6:7]
	v_fmac_f64_e32 v[8:9], v[4:5], v[6:7]
	s_wait_kmcnt 0x0
	v_lshl_add_u64 v[6:7], v[14:15], 4, s[16:17]
	global_atomic_add_f64 v[6:7], v[18:19], off scope:SCOPE_DEV
	s_wait_xcnt 0x0
	global_atomic_add_f64 v[6:7], v[8:9], off offset:8 scope:SCOPE_DEV
.LBB103_38:
	s_wait_xcnt 0x0
	s_or_b32 exec_lo, exec_lo, s11
	v_add_nc_u64_e32 v[8:9], 0x100, v[10:11]
	v_mov_b64_e32 v[6:7], 0
	v_mov_b32_e32 v14, -1
	s_delay_alu instid0(VALU_DEP_3)
	v_cmp_gt_i64_e64 s9, s[20:21], v[8:9]
	v_mov_b64_e32 v[8:9], 0
	s_and_saveexec_b32 s10, s9
	s_cbranch_execz .LBB103_40
; %bb.39:
	v_add_nc_u64_e32 v[6:7], s[14:15], v[12:13]
	global_load_b32 v10, v[6:7], off offset:1024 th:TH_LOAD_NT
	global_load_b64 v[8:9], v[16:17], off offset:2048 th:TH_LOAD_NT
	s_wait_loadcnt 0x1
	s_wait_xcnt 0x1
	v_subrev_nc_u32_e32 v6, s24, v10
	s_wait_loadcnt 0x0
	v_cvt_f64_f32_e32 v[10:11], v9
	global_load_b128 v[14:17], v6, s[18:19] scale_offset
	s_wait_xcnt 0x0
	v_add_nc_u64_e32 v[6:7], s[12:13], v[12:13]
	v_cvt_f64_f32_e32 v[12:13], v8
	global_load_b32 v18, v[6:7], off offset:1024 th:TH_LOAD_NT
	s_wait_loadcnt 0x1
	s_wait_xcnt 0x0
	v_mul_f64_e64 v[6:7], v[16:17], -v[10:11]
	v_mul_f64_e32 v[8:9], v[16:17], v[12:13]
	s_delay_alu instid0(VALU_DEP_2) | instskip(NEXT) | instid1(VALU_DEP_2)
	v_fmac_f64_e32 v[6:7], v[12:13], v[14:15]
	v_fmac_f64_e32 v[8:9], v[10:11], v[14:15]
	s_wait_loadcnt 0x0
	v_subrev_nc_u32_e32 v14, s24, v18
.LBB103_40:
	s_or_b32 exec_lo, exec_lo, s10
	s_and_saveexec_b32 s9, s8
	s_cbranch_execz .LBB103_55
; %bb.41:
	v_mov_b32_e32 v10, 0
	s_mov_b32 s11, exec_lo
	ds_load_b32 v10, v10 offset:5116
	s_wait_dscnt 0x0
	v_readfirstlane_b32 s10, v10
	v_cmpx_ne_u32_e64 v14, v10
	s_xor_b32 s12, exec_lo, s11
	s_cbranch_execz .LBB103_52
; %bb.42:
	s_cmp_lt_i32 s10, 0
	s_cbranch_scc1 .LBB103_52
; %bb.43:
	v_mov_b32_e32 v10, 0
	v_mov_b64_e32 v[16:17], 0x8000000000000000
	s_mov_b32 s8, exec_lo
	ds_load_b128 v[10:13], v10 offset:4080
	s_wait_dscnt 0x0
	v_mul_f64_e64 v[18:19], v[12:13], -v[4:5]
	s_delay_alu instid0(VALU_DEP_1)
	v_fmac_f64_e32 v[18:19], v[2:3], v[10:11]
.LBB103_44:                             ; =>This Inner Loop Header: Depth=1
	s_ctz_i32_b32 s11, s8
	s_delay_alu instid0(VALU_DEP_1) | instid1(SALU_CYCLE_1)
	v_readlane_b32 s15, v19, s11
	s_delay_alu instid0(VALU_DEP_2) | instskip(SKIP_1) | instid1(SALU_CYCLE_1)
	v_readlane_b32 s14, v18, s11
	s_lshl_b32 s11, 1, s11
	s_and_not1_b32 s8, s8, s11
	v_add_f64_e32 v[16:17], s[14:15], v[16:17]
	s_cmp_lg_u32 s8, 0
	s_cbranch_scc1 .LBB103_44
; %bb.45:
	v_mbcnt_lo_u32_b32 v15, exec_lo, 0
	s_mov_b32 s11, 0
	s_delay_alu instid0(SALU_CYCLE_1) | instskip(SKIP_4) | instid1(SALU_CYCLE_1)
	s_lshl_b64 s[10:11], s[10:11], 4
	s_wait_kmcnt 0x0
	s_add_nc_u64 s[10:11], s[16:17], s[10:11]
	v_cmp_eq_u32_e64 s8, 0, v15
	s_and_saveexec_b32 s13, s8
	s_xor_b32 s8, exec_lo, s13
	s_cbranch_execz .LBB103_47
; %bb.46:
	v_mov_b32_e32 v15, 0
	global_atomic_add_f64 v15, v[16:17], s[10:11] scope:SCOPE_DEV
.LBB103_47:
	s_wait_xcnt 0x0
	s_or_b32 exec_lo, exec_lo, s8
	v_mul_f64_e32 v[12:13], v[2:3], v[12:13]
	s_mov_b32 s8, exec_lo
	s_delay_alu instid0(VALU_DEP_1)
	v_fmac_f64_e32 v[12:13], v[4:5], v[10:11]
	v_mov_b64_e32 v[10:11], 0x8000000000000000
.LBB103_48:                             ; =>This Inner Loop Header: Depth=1
	s_ctz_i32_b32 s13, s8
	s_delay_alu instid0(VALU_DEP_2) | instid1(SALU_CYCLE_1)
	v_readlane_b32 s15, v13, s13
	s_delay_alu instid0(VALU_DEP_3) | instskip(SKIP_1) | instid1(SALU_CYCLE_1)
	v_readlane_b32 s14, v12, s13
	s_lshl_b32 s13, 1, s13
	s_and_not1_b32 s8, s8, s13
	v_add_f64_e32 v[10:11], s[14:15], v[10:11]
	s_cmp_lg_u32 s8, 0
	s_cbranch_scc1 .LBB103_48
; %bb.49:
	v_mbcnt_lo_u32_b32 v12, exec_lo, 0
	s_delay_alu instid0(VALU_DEP_1) | instskip(SKIP_1) | instid1(SALU_CYCLE_1)
	v_cmp_eq_u32_e64 s8, 0, v12
	s_and_saveexec_b32 s13, s8
	s_xor_b32 s8, exec_lo, s13
	s_cbranch_execz .LBB103_51
; %bb.50:
	v_mov_b32_e32 v12, 0
	global_atomic_add_f64 v12, v[10:11], s[10:11] offset:8 scope:SCOPE_DEV
.LBB103_51:
	s_wait_xcnt 0x0
	s_or_b32 exec_lo, exec_lo, s8
.LBB103_52:
	s_and_not1_saveexec_b32 s8, s12
	s_cbranch_execz .LBB103_54
; %bb.53:
	v_mov_b32_e32 v10, 0
	ds_load_b128 v[10:13], v10 offset:4080
	s_wait_dscnt 0x0
	v_add_f64_e32 v[6:7], v[6:7], v[10:11]
	v_add_f64_e32 v[8:9], v[8:9], v[12:13]
.LBB103_54:
	s_or_b32 exec_lo, exec_lo, s8
.LBB103_55:
	s_delay_alu instid0(SALU_CYCLE_1)
	s_or_b32 exec_lo, exec_lo, s9
	s_wait_storecnt 0x0
	s_barrier_signal -1
	s_barrier_wait -1
	ds_store_b32 v1, v14
	ds_store_b128 v20, v[6:9]
	s_wait_dscnt 0x0
	s_barrier_signal -1
	s_barrier_wait -1
	s_and_saveexec_b32 s8, vcc_lo
	s_cbranch_execz .LBB103_59
; %bb.56:
	ds_load_b32 v10, v21
	s_mov_b32 s9, exec_lo
	s_wait_dscnt 0x0
	v_cmpx_eq_u32_e64 v14, v10
	s_cbranch_execz .LBB103_58
; %bb.57:
	v_add_nc_u32_e32 v10, -16, v20
	ds_load_b128 v[10:13], v10
	s_wait_dscnt 0x0
	v_add_f64_e32 v[6:7], v[6:7], v[10:11]
	v_add_f64_e32 v[8:9], v[8:9], v[12:13]
.LBB103_58:
	s_or_b32 exec_lo, exec_lo, s9
.LBB103_59:
	s_delay_alu instid0(SALU_CYCLE_1)
	s_or_b32 exec_lo, exec_lo, s8
	s_barrier_signal -1
	s_barrier_wait -1
	ds_store_b128 v20, v[6:9]
	s_wait_dscnt 0x0
	s_barrier_signal -1
	s_barrier_wait -1
	s_and_saveexec_b32 s8, s2
	s_cbranch_execz .LBB103_63
; %bb.60:
	ds_load_b32 v10, v22
	s_mov_b32 s2, exec_lo
	s_wait_dscnt 0x0
	v_cmpx_eq_u32_e64 v14, v10
	s_cbranch_execz .LBB103_62
; %bb.61:
	v_subrev_nc_u32_e32 v10, 32, v20
	ds_load_b128 v[10:13], v10
	s_wait_dscnt 0x0
	v_add_f64_e32 v[6:7], v[6:7], v[10:11]
	v_add_f64_e32 v[8:9], v[8:9], v[12:13]
.LBB103_62:
	s_or_b32 exec_lo, exec_lo, s2
.LBB103_63:
	s_delay_alu instid0(SALU_CYCLE_1)
	s_or_b32 exec_lo, exec_lo, s8
	s_barrier_signal -1
	s_barrier_wait -1
	ds_store_b128 v20, v[6:9]
	s_wait_dscnt 0x0
	s_barrier_signal -1
	s_barrier_wait -1
	s_and_saveexec_b32 s2, s3
	s_cbranch_execz .LBB103_67
; %bb.64:
	ds_load_b32 v10, v23
	s_mov_b32 s3, exec_lo
	s_wait_dscnt 0x0
	v_cmpx_eq_u32_e64 v14, v10
	s_cbranch_execz .LBB103_66
; %bb.65:
	v_subrev_nc_u32_e32 v10, 64, v20
	ds_load_b128 v[10:13], v10
	s_wait_dscnt 0x0
	v_add_f64_e32 v[6:7], v[6:7], v[10:11]
	v_add_f64_e32 v[8:9], v[8:9], v[12:13]
.LBB103_66:
	s_or_b32 exec_lo, exec_lo, s3
.LBB103_67:
	s_delay_alu instid0(SALU_CYCLE_1)
	s_or_b32 exec_lo, exec_lo, s2
	s_barrier_signal -1
	s_barrier_wait -1
	ds_store_b128 v20, v[6:9]
	s_wait_dscnt 0x0
	s_barrier_signal -1
	s_barrier_wait -1
	s_and_saveexec_b32 s2, s4
	s_cbranch_execz .LBB103_71
; %bb.68:
	ds_load_b32 v10, v24
	s_mov_b32 s3, exec_lo
	s_wait_dscnt 0x0
	v_cmpx_eq_u32_e64 v14, v10
	s_cbranch_execz .LBB103_70
; %bb.69:
	v_add_nc_u32_e32 v10, 0xffffff80, v20
	ds_load_b128 v[10:13], v10
	s_wait_dscnt 0x0
	v_add_f64_e32 v[6:7], v[6:7], v[10:11]
	v_add_f64_e32 v[8:9], v[8:9], v[12:13]
.LBB103_70:
	s_or_b32 exec_lo, exec_lo, s3
.LBB103_71:
	s_delay_alu instid0(SALU_CYCLE_1)
	s_or_b32 exec_lo, exec_lo, s2
	s_barrier_signal -1
	s_barrier_wait -1
	ds_store_b128 v20, v[6:9]
	s_wait_dscnt 0x0
	s_barrier_signal -1
	s_barrier_wait -1
	s_and_saveexec_b32 s2, s5
	s_cbranch_execz .LBB103_75
; %bb.72:
	ds_load_b32 v10, v25
	s_mov_b32 s3, exec_lo
	s_wait_dscnt 0x0
	v_cmpx_eq_u32_e64 v14, v10
	s_cbranch_execz .LBB103_74
; %bb.73:
	v_add_nc_u32_e32 v10, 0xffffff00, v20
	ds_load_b128 v[10:13], v10
	s_wait_dscnt 0x0
	v_add_f64_e32 v[6:7], v[6:7], v[10:11]
	v_add_f64_e32 v[8:9], v[8:9], v[12:13]
.LBB103_74:
	s_or_b32 exec_lo, exec_lo, s3
.LBB103_75:
	;; [unrolled: 25-line block ×5, first 2 shown]
	s_delay_alu instid0(SALU_CYCLE_1)
	s_or_b32 exec_lo, exec_lo, s2
	s_barrier_signal -1
	s_barrier_wait -1
	ds_store_b128 v20, v[6:9]
	s_wait_dscnt 0x0
	s_barrier_signal -1
	s_barrier_wait -1
	s_and_saveexec_b32 s2, s1
	s_cbranch_execz .LBB103_90
; %bb.88:
	ds_load_b32 v1, v1 offset:4
	v_cmp_lt_i32_e64 s0, -1, v14
	s_wait_dscnt 0x0
	v_cmp_ne_u32_e32 vcc_lo, v14, v1
	s_and_b32 s0, s0, vcc_lo
	s_delay_alu instid0(SALU_CYCLE_1)
	s_and_b32 exec_lo, exec_lo, s0
	s_cbranch_execz .LBB103_90
; %bb.89:
	v_dual_mul_f64 v[10:11], v[8:9], -v[4:5] :: v_dual_mov_b32 v15, 0
	v_mul_f64_e32 v[12:13], v[2:3], v[8:9]
	s_wait_kmcnt 0x0
	s_delay_alu instid0(VALU_DEP_2) | instskip(NEXT) | instid1(VALU_DEP_3)
	v_lshl_add_u64 v[16:17], v[14:15], 4, s[16:17]
	v_fmac_f64_e32 v[10:11], v[2:3], v[6:7]
	s_delay_alu instid0(VALU_DEP_3)
	v_fmac_f64_e32 v[12:13], v[4:5], v[6:7]
	global_atomic_add_f64 v[16:17], v[10:11], off scope:SCOPE_DEV
	s_wait_xcnt 0x0
	global_atomic_add_f64 v[16:17], v[12:13], off offset:8 scope:SCOPE_DEV
.LBB103_90:
	s_wait_xcnt 0x0
	s_or_b32 exec_lo, exec_lo, s2
	v_cmp_eq_u32_e32 vcc_lo, 0xff, v0
	v_cmp_lt_i32_e64 s0, -1, v14
	s_and_b32 s0, vcc_lo, s0
	s_delay_alu instid0(SALU_CYCLE_1)
	s_and_b32 exec_lo, exec_lo, s0
	s_cbranch_execz .LBB103_92
; %bb.91:
	v_dual_mul_f64 v[0:1], v[8:9], -v[4:5] :: v_dual_mov_b32 v15, 0
	v_mul_f64_e32 v[8:9], v[2:3], v[8:9]
	s_delay_alu instid0(VALU_DEP_2) | instskip(SKIP_1) | instid1(VALU_DEP_3)
	v_fmac_f64_e32 v[0:1], v[2:3], v[6:7]
	s_wait_kmcnt 0x0
	v_lshl_add_u64 v[2:3], v[14:15], 4, s[16:17]
	s_delay_alu instid0(VALU_DEP_3)
	v_fmac_f64_e32 v[8:9], v[4:5], v[6:7]
	global_atomic_add_f64 v[2:3], v[0:1], off scope:SCOPE_DEV
	s_wait_xcnt 0x0
	global_atomic_add_f64 v[2:3], v[8:9], off offset:8 scope:SCOPE_DEV
.LBB103_92:
	s_endpgm
	.section	.rodata,"a",@progbits
	.p2align	6, 0x0
	.amdhsa_kernel _ZN9rocsparseL19coomvn_atomic_loopsILj256ELj2Ei21rocsparse_complex_numIfES1_IdES3_S3_EEvlNS_24const_host_device_scalarIT5_EEPKT1_S9_PKT2_PKT3_PT4_21rocsparse_index_base_b
		.amdhsa_group_segment_fixed_size 5120
		.amdhsa_private_segment_fixed_size 0
		.amdhsa_kernarg_size 72
		.amdhsa_user_sgpr_count 2
		.amdhsa_user_sgpr_dispatch_ptr 0
		.amdhsa_user_sgpr_queue_ptr 0
		.amdhsa_user_sgpr_kernarg_segment_ptr 1
		.amdhsa_user_sgpr_dispatch_id 0
		.amdhsa_user_sgpr_kernarg_preload_length 0
		.amdhsa_user_sgpr_kernarg_preload_offset 0
		.amdhsa_user_sgpr_private_segment_size 0
		.amdhsa_wavefront_size32 1
		.amdhsa_uses_dynamic_stack 0
		.amdhsa_enable_private_segment 0
		.amdhsa_system_sgpr_workgroup_id_x 1
		.amdhsa_system_sgpr_workgroup_id_y 0
		.amdhsa_system_sgpr_workgroup_id_z 0
		.amdhsa_system_sgpr_workgroup_info 0
		.amdhsa_system_vgpr_workitem_id 0
		.amdhsa_next_free_vgpr 34
		.amdhsa_next_free_sgpr 26
		.amdhsa_named_barrier_count 0
		.amdhsa_reserve_vcc 1
		.amdhsa_float_round_mode_32 0
		.amdhsa_float_round_mode_16_64 0
		.amdhsa_float_denorm_mode_32 3
		.amdhsa_float_denorm_mode_16_64 3
		.amdhsa_fp16_overflow 0
		.amdhsa_memory_ordered 1
		.amdhsa_forward_progress 1
		.amdhsa_inst_pref_size 25
		.amdhsa_round_robin_scheduling 0
		.amdhsa_exception_fp_ieee_invalid_op 0
		.amdhsa_exception_fp_denorm_src 0
		.amdhsa_exception_fp_ieee_div_zero 0
		.amdhsa_exception_fp_ieee_overflow 0
		.amdhsa_exception_fp_ieee_underflow 0
		.amdhsa_exception_fp_ieee_inexact 0
		.amdhsa_exception_int_div_zero 0
	.end_amdhsa_kernel
	.section	.text._ZN9rocsparseL19coomvn_atomic_loopsILj256ELj2Ei21rocsparse_complex_numIfES1_IdES3_S3_EEvlNS_24const_host_device_scalarIT5_EEPKT1_S9_PKT2_PKT3_PT4_21rocsparse_index_base_b,"axG",@progbits,_ZN9rocsparseL19coomvn_atomic_loopsILj256ELj2Ei21rocsparse_complex_numIfES1_IdES3_S3_EEvlNS_24const_host_device_scalarIT5_EEPKT1_S9_PKT2_PKT3_PT4_21rocsparse_index_base_b,comdat
.Lfunc_end103:
	.size	_ZN9rocsparseL19coomvn_atomic_loopsILj256ELj2Ei21rocsparse_complex_numIfES1_IdES3_S3_EEvlNS_24const_host_device_scalarIT5_EEPKT1_S9_PKT2_PKT3_PT4_21rocsparse_index_base_b, .Lfunc_end103-_ZN9rocsparseL19coomvn_atomic_loopsILj256ELj2Ei21rocsparse_complex_numIfES1_IdES3_S3_EEvlNS_24const_host_device_scalarIT5_EEPKT1_S9_PKT2_PKT3_PT4_21rocsparse_index_base_b
                                        ; -- End function
	.set _ZN9rocsparseL19coomvn_atomic_loopsILj256ELj2Ei21rocsparse_complex_numIfES1_IdES3_S3_EEvlNS_24const_host_device_scalarIT5_EEPKT1_S9_PKT2_PKT3_PT4_21rocsparse_index_base_b.num_vgpr, 34
	.set _ZN9rocsparseL19coomvn_atomic_loopsILj256ELj2Ei21rocsparse_complex_numIfES1_IdES3_S3_EEvlNS_24const_host_device_scalarIT5_EEPKT1_S9_PKT2_PKT3_PT4_21rocsparse_index_base_b.num_agpr, 0
	.set _ZN9rocsparseL19coomvn_atomic_loopsILj256ELj2Ei21rocsparse_complex_numIfES1_IdES3_S3_EEvlNS_24const_host_device_scalarIT5_EEPKT1_S9_PKT2_PKT3_PT4_21rocsparse_index_base_b.numbered_sgpr, 26
	.set _ZN9rocsparseL19coomvn_atomic_loopsILj256ELj2Ei21rocsparse_complex_numIfES1_IdES3_S3_EEvlNS_24const_host_device_scalarIT5_EEPKT1_S9_PKT2_PKT3_PT4_21rocsparse_index_base_b.num_named_barrier, 0
	.set _ZN9rocsparseL19coomvn_atomic_loopsILj256ELj2Ei21rocsparse_complex_numIfES1_IdES3_S3_EEvlNS_24const_host_device_scalarIT5_EEPKT1_S9_PKT2_PKT3_PT4_21rocsparse_index_base_b.private_seg_size, 0
	.set _ZN9rocsparseL19coomvn_atomic_loopsILj256ELj2Ei21rocsparse_complex_numIfES1_IdES3_S3_EEvlNS_24const_host_device_scalarIT5_EEPKT1_S9_PKT2_PKT3_PT4_21rocsparse_index_base_b.uses_vcc, 1
	.set _ZN9rocsparseL19coomvn_atomic_loopsILj256ELj2Ei21rocsparse_complex_numIfES1_IdES3_S3_EEvlNS_24const_host_device_scalarIT5_EEPKT1_S9_PKT2_PKT3_PT4_21rocsparse_index_base_b.uses_flat_scratch, 0
	.set _ZN9rocsparseL19coomvn_atomic_loopsILj256ELj2Ei21rocsparse_complex_numIfES1_IdES3_S3_EEvlNS_24const_host_device_scalarIT5_EEPKT1_S9_PKT2_PKT3_PT4_21rocsparse_index_base_b.has_dyn_sized_stack, 0
	.set _ZN9rocsparseL19coomvn_atomic_loopsILj256ELj2Ei21rocsparse_complex_numIfES1_IdES3_S3_EEvlNS_24const_host_device_scalarIT5_EEPKT1_S9_PKT2_PKT3_PT4_21rocsparse_index_base_b.has_recursion, 0
	.set _ZN9rocsparseL19coomvn_atomic_loopsILj256ELj2Ei21rocsparse_complex_numIfES1_IdES3_S3_EEvlNS_24const_host_device_scalarIT5_EEPKT1_S9_PKT2_PKT3_PT4_21rocsparse_index_base_b.has_indirect_call, 0
	.section	.AMDGPU.csdata,"",@progbits
; Kernel info:
; codeLenInByte = 3124
; TotalNumSgprs: 28
; NumVgprs: 34
; ScratchSize: 0
; MemoryBound: 0
; FloatMode: 240
; IeeeMode: 1
; LDSByteSize: 5120 bytes/workgroup (compile time only)
; SGPRBlocks: 0
; VGPRBlocks: 2
; NumSGPRsForWavesPerEU: 28
; NumVGPRsForWavesPerEU: 34
; NamedBarCnt: 0
; Occupancy: 16
; WaveLimiterHint : 1
; COMPUTE_PGM_RSRC2:SCRATCH_EN: 0
; COMPUTE_PGM_RSRC2:USER_SGPR: 2
; COMPUTE_PGM_RSRC2:TRAP_HANDLER: 0
; COMPUTE_PGM_RSRC2:TGID_X_EN: 1
; COMPUTE_PGM_RSRC2:TGID_Y_EN: 0
; COMPUTE_PGM_RSRC2:TGID_Z_EN: 0
; COMPUTE_PGM_RSRC2:TIDIG_COMP_CNT: 0
	.section	.text._ZN9rocsparseL22coomvn_segmented_loopsILj256El21rocsparse_complex_numIfES1_IdES3_S3_EEvlT0_NS_24const_host_device_scalarIT4_EEPKS4_S9_PKT1_PKT2_PT3_PS4_PS6_21rocsparse_index_base_b,"axG",@progbits,_ZN9rocsparseL22coomvn_segmented_loopsILj256El21rocsparse_complex_numIfES1_IdES3_S3_EEvlT0_NS_24const_host_device_scalarIT4_EEPKS4_S9_PKT1_PKT2_PT3_PS4_PS6_21rocsparse_index_base_b,comdat
	.globl	_ZN9rocsparseL22coomvn_segmented_loopsILj256El21rocsparse_complex_numIfES1_IdES3_S3_EEvlT0_NS_24const_host_device_scalarIT4_EEPKS4_S9_PKT1_PKT2_PT3_PS4_PS6_21rocsparse_index_base_b ; -- Begin function _ZN9rocsparseL22coomvn_segmented_loopsILj256El21rocsparse_complex_numIfES1_IdES3_S3_EEvlT0_NS_24const_host_device_scalarIT4_EEPKS4_S9_PKT1_PKT2_PT3_PS4_PS6_21rocsparse_index_base_b
	.p2align	8
	.type	_ZN9rocsparseL22coomvn_segmented_loopsILj256El21rocsparse_complex_numIfES1_IdES3_S3_EEvlT0_NS_24const_host_device_scalarIT4_EEPKS4_S9_PKT1_PKT2_PT3_PS4_PS6_21rocsparse_index_base_b,@function
_ZN9rocsparseL22coomvn_segmented_loopsILj256El21rocsparse_complex_numIfES1_IdES3_S3_EEvlT0_NS_24const_host_device_scalarIT4_EEPKS4_S9_PKT1_PKT2_PT3_PS4_PS6_21rocsparse_index_base_b: ; @_ZN9rocsparseL22coomvn_segmented_loopsILj256El21rocsparse_complex_numIfES1_IdES3_S3_EEvlT0_NS_24const_host_device_scalarIT4_EEPKS4_S9_PKT1_PKT2_PT3_PS4_PS6_21rocsparse_index_base_b
; %bb.0:
	s_clause 0x1
	s_load_b64 s[14:15], s[0:1], 0x58
	s_load_b64 s[2:3], s[0:1], 0x10
	v_mov_b32_e32 v1, 0
	s_add_nc_u64 s[4:5], s[0:1], 16
	s_wait_kmcnt 0x0
	s_bitcmp1_b32 s15, 0
	s_cselect_b32 s3, s5, s3
	s_cselect_b32 s2, s4, s2
	flat_load_b128 v[2:5], v1, s[2:3]
	s_wait_loadcnt_dscnt 0x0
	v_cmp_neq_f64_e32 vcc_lo, 0, v[2:3]
	v_cmp_neq_f64_e64 s2, 0, v[4:5]
	s_or_b32 s2, vcc_lo, s2
	s_delay_alu instid0(SALU_CYCLE_1)
	s_and_saveexec_b32 s3, s2
	s_cbranch_execz .LBB104_87
; %bb.1:
	s_load_b128 s[24:27], s[0:1], 0x0
	s_bfe_u32 s2, ttmp6, 0x4000c
	s_load_b256 s[16:23], s[0:1], 0x20
	s_add_co_i32 s2, s2, 1
	s_and_b32 s3, ttmp6, 15
	s_mul_i32 s2, ttmp9, s2
	s_getreg_b32 s4, hwreg(HW_REG_IB_STS2, 6, 4)
	s_add_co_i32 s3, s3, s2
	v_mov_b64_e32 v[6:7], 0
	s_cmp_eq_u32 s4, 0
	s_mov_b32 s29, 0
	s_cselect_b32 s28, ttmp9, s3
	v_mov_b64_e32 v[10:11], -1
	s_delay_alu instid0(VALU_DEP_2) | instskip(SKIP_2) | instid1(SALU_CYCLE_1)
	v_mov_b64_e32 v[8:9], v[6:7]
	s_wait_kmcnt 0x0
	s_mul_u64 s[34:35], s[28:29], s[26:27]
	s_lshl_b64 s[2:3], s[34:35], 8
	s_delay_alu instid0(SALU_CYCLE_1) | instskip(SKIP_1) | instid1(VALU_DEP_1)
	v_dual_mov_b32 v13, s3 :: v_dual_bitop2_b32 v12, s2, v0 bitop3:0x54
	s_mov_b32 s2, exec_lo
	v_cmpx_gt_i64_e64 s[24:25], v[12:13]
	s_cbranch_execz .LBB104_3
; %bb.2:
	v_lshlrev_b64_e32 v[6:7], 3, v[12:13]
	s_mov_b32 s15, s29
	s_delay_alu instid0(VALU_DEP_1)
	v_add_nc_u64_e32 v[8:9], s[16:17], v[6:7]
	v_add_nc_u64_e32 v[10:11], s[18:19], v[6:7]
	;; [unrolled: 1-line block ×3, first 2 shown]
	global_load_b64 v[14:15], v[8:9], off th:TH_LOAD_NT
	global_load_b64 v[16:17], v[10:11], off th:TH_LOAD_NT
	global_load_b64 v[6:7], v[6:7], off th:TH_LOAD_NT
	s_wait_loadcnt 0x2
	s_wait_xcnt 0x1
	v_sub_nc_u64_e64 v[10:11], v[14:15], s[14:15]
	s_wait_loadcnt 0x1
	v_lshl_add_u64 v[8:9], v[16:17], 4, s[22:23]
	s_ashr_i32 s15, s14, 31
	s_wait_loadcnt 0x0
	v_cvt_f64_f32_e32 v[18:19], v7
	s_lshl_b64 s[4:5], s[14:15], 4
	v_cvt_f64_f32_e32 v[20:21], v6
	v_sub_nc_u64_e64 v[8:9], v[8:9], s[4:5]
	global_load_b128 v[14:17], v[8:9], off
	s_wait_loadcnt 0x0
	v_mul_f64_e64 v[6:7], v[16:17], -v[18:19]
	v_mul_f64_e32 v[8:9], v[16:17], v[20:21]
	s_delay_alu instid0(VALU_DEP_2) | instskip(NEXT) | instid1(VALU_DEP_2)
	v_fmac_f64_e32 v[6:7], v[20:21], v[14:15]
	v_fmac_f64_e32 v[8:9], v[18:19], v[14:15]
.LBB104_3:
	s_or_b32 exec_lo, exec_lo, s2
	v_dual_lshlrev_b32 v14, 3, v0 :: v_dual_lshlrev_b32 v1, 4, v0
	v_cmp_eq_u32_e64 s2, 0, v0
	v_cmp_ne_u32_e64 s3, 0, v0
	ds_store_b64 v14, v[10:11] offset:4096
	ds_store_b128 v1, v[6:9]
	v_or_b32_e32 v22, 0x1000, v14
	s_wait_dscnt 0x0
	s_barrier_signal -1
	s_barrier_wait -1
	s_delay_alu instid0(VALU_DEP_1)
	v_add_nc_u32_e32 v23, -8, v22
	s_and_saveexec_b32 s4, s3
	s_cbranch_execz .LBB104_7
; %bb.4:
	ds_load_b64 v[14:15], v23
	s_mov_b32 s5, exec_lo
	s_wait_dscnt 0x0
	v_cmpx_eq_u64_e64 v[10:11], v[14:15]
	s_cbranch_execz .LBB104_6
; %bb.5:
	v_add_nc_u32_e32 v14, -16, v1
	ds_load_b128 v[14:17], v14
	s_wait_dscnt 0x0
	v_add_f64_e32 v[6:7], v[6:7], v[14:15]
	v_add_f64_e32 v[8:9], v[8:9], v[16:17]
.LBB104_6:
	s_or_b32 exec_lo, exec_lo, s5
.LBB104_7:
	s_delay_alu instid0(SALU_CYCLE_1)
	s_or_b32 exec_lo, exec_lo, s4
	v_cmp_lt_u32_e64 s4, 1, v0
	v_add_nc_u32_e32 v24, -16, v22
	s_barrier_signal -1
	s_barrier_wait -1
	ds_store_b128 v1, v[6:9]
	s_wait_dscnt 0x0
	s_barrier_signal -1
	s_barrier_wait -1
	s_and_saveexec_b32 s5, s4
	s_cbranch_execz .LBB104_11
; %bb.8:
	ds_load_b64 v[14:15], v24
	s_mov_b32 s6, exec_lo
	s_wait_dscnt 0x0
	v_cmpx_eq_u64_e64 v[10:11], v[14:15]
	s_cbranch_execz .LBB104_10
; %bb.9:
	v_subrev_nc_u32_e32 v14, 32, v1
	ds_load_b128 v[14:17], v14
	s_wait_dscnt 0x0
	v_add_f64_e32 v[6:7], v[6:7], v[14:15]
	v_add_f64_e32 v[8:9], v[8:9], v[16:17]
.LBB104_10:
	s_or_b32 exec_lo, exec_lo, s6
.LBB104_11:
	s_delay_alu instid0(SALU_CYCLE_1)
	s_or_b32 exec_lo, exec_lo, s5
	v_cmp_lt_u32_e64 s5, 3, v0
	v_subrev_nc_u32_e32 v25, 32, v22
	s_barrier_signal -1
	s_barrier_wait -1
	ds_store_b128 v1, v[6:9]
	s_wait_dscnt 0x0
	s_barrier_signal -1
	s_barrier_wait -1
	s_and_saveexec_b32 s6, s5
	s_cbranch_execz .LBB104_15
; %bb.12:
	ds_load_b64 v[14:15], v25
	s_mov_b32 s7, exec_lo
	s_wait_dscnt 0x0
	v_cmpx_eq_u64_e64 v[10:11], v[14:15]
	s_cbranch_execz .LBB104_14
; %bb.13:
	v_subrev_nc_u32_e32 v14, 64, v1
	ds_load_b128 v[14:17], v14
	s_wait_dscnt 0x0
	v_add_f64_e32 v[6:7], v[6:7], v[14:15]
	v_add_f64_e32 v[8:9], v[8:9], v[16:17]
.LBB104_14:
	s_or_b32 exec_lo, exec_lo, s7
.LBB104_15:
	s_delay_alu instid0(SALU_CYCLE_1)
	s_or_b32 exec_lo, exec_lo, s6
	v_cmp_lt_u32_e64 s6, 7, v0
	v_subrev_nc_u32_e32 v26, 64, v22
	s_barrier_signal -1
	s_barrier_wait -1
	ds_store_b128 v1, v[6:9]
	s_wait_dscnt 0x0
	s_barrier_signal -1
	s_barrier_wait -1
	s_and_saveexec_b32 s7, s6
	s_cbranch_execz .LBB104_19
; %bb.16:
	ds_load_b64 v[14:15], v26
	s_mov_b32 s8, exec_lo
	s_wait_dscnt 0x0
	v_cmpx_eq_u64_e64 v[10:11], v[14:15]
	s_cbranch_execz .LBB104_18
; %bb.17:
	v_add_nc_u32_e32 v14, 0xffffff80, v1
	ds_load_b128 v[14:17], v14
	s_wait_dscnt 0x0
	v_add_f64_e32 v[6:7], v[6:7], v[14:15]
	v_add_f64_e32 v[8:9], v[8:9], v[16:17]
.LBB104_18:
	s_or_b32 exec_lo, exec_lo, s8
.LBB104_19:
	s_delay_alu instid0(SALU_CYCLE_1)
	s_or_b32 exec_lo, exec_lo, s7
	v_cmp_lt_u32_e64 s7, 15, v0
	v_add_nc_u32_e32 v27, 0xffffff80, v22
	s_barrier_signal -1
	s_barrier_wait -1
	ds_store_b128 v1, v[6:9]
	s_wait_dscnt 0x0
	s_barrier_signal -1
	s_barrier_wait -1
	s_and_saveexec_b32 s8, s7
	s_cbranch_execz .LBB104_23
; %bb.20:
	ds_load_b64 v[14:15], v27
	s_mov_b32 s9, exec_lo
	s_wait_dscnt 0x0
	v_cmpx_eq_u64_e64 v[10:11], v[14:15]
	s_cbranch_execz .LBB104_22
; %bb.21:
	v_add_nc_u32_e32 v14, 0xffffff00, v1
	ds_load_b128 v[14:17], v14
	s_wait_dscnt 0x0
	v_add_f64_e32 v[6:7], v[6:7], v[14:15]
	v_add_f64_e32 v[8:9], v[8:9], v[16:17]
.LBB104_22:
	s_or_b32 exec_lo, exec_lo, s9
.LBB104_23:
	s_delay_alu instid0(SALU_CYCLE_1)
	s_or_b32 exec_lo, exec_lo, s8
	v_cmp_lt_u32_e64 s8, 31, v0
	v_add_nc_u32_e32 v28, 0xffffff00, v22
	;; [unrolled: 27-line block ×4, first 2 shown]
	s_barrier_signal -1
	s_barrier_wait -1
	ds_store_b128 v1, v[6:9]
	s_wait_dscnt 0x0
	s_barrier_signal -1
	s_barrier_wait -1
	s_and_saveexec_b32 s11, s10
	s_cbranch_execz .LBB104_35
; %bb.32:
	ds_load_b64 v[14:15], v30
	s_mov_b32 s12, exec_lo
	s_wait_dscnt 0x0
	v_cmpx_eq_u64_e64 v[10:11], v[14:15]
	s_cbranch_execz .LBB104_34
; %bb.33:
	v_add_nc_u32_e32 v14, 0xfffff800, v1
	ds_load_b128 v[14:17], v14
	s_wait_dscnt 0x0
	v_add_f64_e32 v[6:7], v[6:7], v[14:15]
	v_add_f64_e32 v[8:9], v[8:9], v[16:17]
.LBB104_34:
	s_or_b32 exec_lo, exec_lo, s12
.LBB104_35:
	s_delay_alu instid0(SALU_CYCLE_1)
	s_or_b32 exec_lo, exec_lo, s11
	s_load_b64 s[30:31], s[0:1], 0x40
	v_cmp_gt_u32_e64 s11, 0xff, v0
	s_barrier_signal -1
	s_barrier_wait -1
	ds_store_b128 v1, v[6:9]
	s_wait_dscnt 0x0
	s_barrier_signal -1
	s_barrier_wait -1
	s_and_saveexec_b32 s13, s11
	s_cbranch_execz .LBB104_38
; %bb.36:
	ds_load_b64 v[14:15], v22 offset:8
	v_cmp_lt_i64_e64 s12, -1, v[10:11]
	s_wait_dscnt 0x0
	v_cmp_ne_u64_e32 vcc_lo, v[10:11], v[14:15]
	s_and_b32 s12, s12, vcc_lo
	s_delay_alu instid0(SALU_CYCLE_1)
	s_and_b32 exec_lo, exec_lo, s12
	s_cbranch_execz .LBB104_38
; %bb.37:
	s_wait_kmcnt 0x0
	v_lshl_add_u64 v[18:19], v[10:11], 4, s[30:31]
	global_load_b128 v[14:17], v[18:19], off
	s_wait_loadcnt 0x0
	v_fmac_f64_e32 v[14:15], v[2:3], v[6:7]
	v_fmac_f64_e32 v[16:17], v[4:5], v[6:7]
	s_delay_alu instid0(VALU_DEP_2) | instskip(NEXT) | instid1(VALU_DEP_2)
	v_fma_f64 v[14:15], -v[4:5], v[8:9], v[14:15]
	v_fmac_f64_e32 v[16:17], v[2:3], v[8:9]
	global_store_b128 v[18:19], v[14:17], off
.LBB104_38:
	s_wait_xcnt 0x0
	s_or_b32 exec_lo, exec_lo, s13
	v_cmp_lt_i64_e64 s12, s[26:27], 2
	s_and_b32 vcc_lo, exec_lo, s12
	s_cbranch_vccnz .LBB104_85
; %bb.39:
	s_lshl_b64 s[12:13], s[34:35], 11
	v_add_nc_u64_e32 v[12:13], 0x100, v[12:13]
	v_lshl_or_b32 v6, v0, 3, s12
	v_dual_mov_b32 v7, s13 :: v_dual_add_nc_u32 v31, -16, v1
	s_ashr_i32 s35, s14, 31
	s_mov_b32 s34, s14
	v_subrev_nc_u32_e32 v32, 32, v1
	s_delay_alu instid0(VALU_DEP_2)
	v_add_nc_u64_e32 v[6:7], 0x800, v[6:7]
	v_subrev_nc_u32_e32 v33, 64, v1
	v_dual_mov_b32 v39, 0 :: v_dual_add_nc_u32 v34, 0xffffff80, v1
	v_add_nc_u32_e32 v35, 0xffffff00, v1
	v_add_nc_u32_e32 v36, 0xfffffe00, v1
	v_add_nc_u32_e32 v37, 0xfffffc00, v1
	v_add_nc_u64_e32 v[14:15], s[18:19], v[6:7]
	v_add_nc_u64_e32 v[16:17], s[20:21], v[6:7]
	;; [unrolled: 1-line block ×3, first 2 shown]
	v_add_nc_u32_e32 v38, 0xfffff800, v1
	s_lshl_b64 s[12:13], s[34:35], 4
	s_add_nc_u64 s[26:27], s[26:27], -1
	s_mov_b32 s15, 0
	s_sub_nc_u64 s[16:17], s[22:23], s[12:13]
	s_mov_b64 s[18:19], 0
	s_branch .LBB104_41
.LBB104_40:                             ;   in Loop: Header=BB104_41 Depth=1
	s_wait_xcnt 0x0
	s_or_b32 exec_lo, exec_lo, s13
	s_add_nc_u64 s[18:19], s[18:19], 1
	v_add_nc_u64_e32 v[14:15], 0x800, v[14:15]
	v_cmp_le_u64_e64 s12, s[26:27], s[18:19]
	v_add_nc_u64_e32 v[16:17], 0x800, v[16:17]
	v_add_nc_u64_e32 v[18:19], 0x800, v[18:19]
	;; [unrolled: 1-line block ×3, first 2 shown]
	s_and_b32 vcc_lo, exec_lo, s12
	s_cbranch_vccnz .LBB104_85
.LBB104_41:                             ; =>This Inner Loop Header: Depth=1
	v_mov_b64_e32 v[10:11], -1
	v_mov_b64_e32 v[6:7], 0
	v_mov_b64_e32 v[8:9], 0
	s_mov_b32 s12, exec_lo
	v_cmpx_gt_i64_e64 s[24:25], v[12:13]
	s_cbranch_execz .LBB104_43
; %bb.42:                               ;   in Loop: Header=BB104_41 Depth=1
	global_load_b64 v[6:7], v[14:15], off th:TH_LOAD_NT
	global_load_b64 v[8:9], v[16:17], off th:TH_LOAD_NT
	s_wait_loadcnt 0x1
	v_lshl_add_u64 v[6:7], v[6:7], 4, s[16:17]
	s_wait_loadcnt 0x0
	v_cvt_f64_f32_e32 v[20:21], v9
	v_cvt_f64_f32_e32 v[44:45], v8
	global_load_b128 v[40:43], v[6:7], off
	global_load_b64 v[10:11], v[18:19], off th:TH_LOAD_NT
	s_wait_loadcnt 0x1
	s_wait_xcnt 0x1
	v_mul_f64_e64 v[6:7], v[42:43], -v[20:21]
	v_mul_f64_e32 v[8:9], v[42:43], v[44:45]
	s_wait_loadcnt 0x0
	v_sub_nc_u64_e64 v[10:11], v[10:11], s[14:15]
	s_delay_alu instid0(VALU_DEP_3) | instskip(NEXT) | instid1(VALU_DEP_3)
	v_fmac_f64_e32 v[6:7], v[44:45], v[40:41]
	v_fmac_f64_e32 v[8:9], v[20:21], v[40:41]
.LBB104_43:                             ;   in Loop: Header=BB104_41 Depth=1
	s_wait_xcnt 0x0
	s_or_b32 exec_lo, exec_lo, s12
	s_and_saveexec_b32 s12, s2
	s_cbranch_execz .LBB104_50
; %bb.44:                               ;   in Loop: Header=BB104_41 Depth=1
	ds_load_b64 v[20:21], v39 offset:6136
	s_mov_b32 s13, exec_lo
	s_wait_dscnt 0x0
	v_cmpx_ne_u64_e64 v[10:11], v[20:21]
	s_xor_b32 s13, exec_lo, s13
	s_cbranch_execz .LBB104_47
; %bb.45:                               ;   in Loop: Header=BB104_41 Depth=1
	v_cmp_gt_i64_e32 vcc_lo, 0, v[20:21]
	s_cbranch_vccnz .LBB104_47
; %bb.46:                               ;   in Loop: Header=BB104_41 Depth=1
	v_lshlrev_b64_e32 v[20:21], 4, v[20:21]
	ds_load_b128 v[44:47], v39 offset:4080
	s_wait_kmcnt 0x0
	v_add_nc_u64_e32 v[20:21], s[30:31], v[20:21]
	global_load_b128 v[40:43], v[20:21], off
	s_wait_loadcnt_dscnt 0x0
	v_fmac_f64_e32 v[40:41], v[2:3], v[44:45]
	v_fmac_f64_e32 v[42:43], v[4:5], v[44:45]
	s_delay_alu instid0(VALU_DEP_2) | instskip(NEXT) | instid1(VALU_DEP_2)
	v_fma_f64 v[40:41], -v[4:5], v[46:47], v[40:41]
	v_fmac_f64_e32 v[42:43], v[2:3], v[46:47]
	global_store_b128 v[20:21], v[40:43], off
.LBB104_47:                             ;   in Loop: Header=BB104_41 Depth=1
	s_wait_xcnt 0x0
	s_and_not1_saveexec_b32 s13, s13
	s_cbranch_execz .LBB104_49
; %bb.48:                               ;   in Loop: Header=BB104_41 Depth=1
	ds_load_b128 v[40:43], v39 offset:4080
	s_wait_dscnt 0x0
	v_add_f64_e32 v[6:7], v[6:7], v[40:41]
	v_add_f64_e32 v[8:9], v[8:9], v[42:43]
.LBB104_49:                             ;   in Loop: Header=BB104_41 Depth=1
	s_or_b32 exec_lo, exec_lo, s13
.LBB104_50:                             ;   in Loop: Header=BB104_41 Depth=1
	s_delay_alu instid0(SALU_CYCLE_1)
	s_or_b32 exec_lo, exec_lo, s12
	s_wait_storecnt 0x0
	s_barrier_signal -1
	s_barrier_wait -1
	ds_store_b64 v22, v[10:11]
	ds_store_b128 v1, v[6:9]
	s_wait_dscnt 0x0
	s_barrier_signal -1
	s_barrier_wait -1
	s_and_saveexec_b32 s12, s3
	s_cbranch_execz .LBB104_54
; %bb.51:                               ;   in Loop: Header=BB104_41 Depth=1
	ds_load_b64 v[20:21], v23
	s_mov_b32 s13, exec_lo
	s_wait_dscnt 0x0
	v_cmpx_eq_u64_e64 v[10:11], v[20:21]
	s_cbranch_execz .LBB104_53
; %bb.52:                               ;   in Loop: Header=BB104_41 Depth=1
	ds_load_b128 v[40:43], v31
	s_wait_dscnt 0x0
	v_add_f64_e32 v[6:7], v[6:7], v[40:41]
	v_add_f64_e32 v[8:9], v[8:9], v[42:43]
.LBB104_53:                             ;   in Loop: Header=BB104_41 Depth=1
	s_or_b32 exec_lo, exec_lo, s13
.LBB104_54:                             ;   in Loop: Header=BB104_41 Depth=1
	s_delay_alu instid0(SALU_CYCLE_1)
	s_or_b32 exec_lo, exec_lo, s12
	s_barrier_signal -1
	s_barrier_wait -1
	ds_store_b128 v1, v[6:9]
	s_wait_dscnt 0x0
	s_barrier_signal -1
	s_barrier_wait -1
	s_and_saveexec_b32 s12, s4
	s_cbranch_execz .LBB104_58
; %bb.55:                               ;   in Loop: Header=BB104_41 Depth=1
	ds_load_b64 v[20:21], v24
	s_mov_b32 s13, exec_lo
	s_wait_dscnt 0x0
	v_cmpx_eq_u64_e64 v[10:11], v[20:21]
	s_cbranch_execz .LBB104_57
; %bb.56:                               ;   in Loop: Header=BB104_41 Depth=1
	ds_load_b128 v[40:43], v32
	s_wait_dscnt 0x0
	v_add_f64_e32 v[6:7], v[6:7], v[40:41]
	v_add_f64_e32 v[8:9], v[8:9], v[42:43]
.LBB104_57:                             ;   in Loop: Header=BB104_41 Depth=1
	s_or_b32 exec_lo, exec_lo, s13
.LBB104_58:                             ;   in Loop: Header=BB104_41 Depth=1
	s_delay_alu instid0(SALU_CYCLE_1)
	s_or_b32 exec_lo, exec_lo, s12
	s_barrier_signal -1
	s_barrier_wait -1
	;; [unrolled: 24-line block ×8, first 2 shown]
	ds_store_b128 v1, v[6:9]
	s_wait_dscnt 0x0
	s_barrier_signal -1
	s_barrier_wait -1
	s_and_saveexec_b32 s13, s11
	s_cbranch_execz .LBB104_40
; %bb.83:                               ;   in Loop: Header=BB104_41 Depth=1
	ds_load_b64 v[20:21], v22 offset:8
	v_cmp_lt_i64_e64 s12, -1, v[10:11]
	s_wait_dscnt 0x0
	v_cmp_ne_u64_e32 vcc_lo, v[10:11], v[20:21]
	s_and_b32 s12, s12, vcc_lo
	s_delay_alu instid0(SALU_CYCLE_1)
	s_and_b32 exec_lo, exec_lo, s12
	s_cbranch_execz .LBB104_40
; %bb.84:                               ;   in Loop: Header=BB104_41 Depth=1
	s_wait_kmcnt 0x0
	v_lshl_add_u64 v[20:21], v[10:11], 4, s[30:31]
	global_load_b128 v[40:43], v[20:21], off
	s_wait_loadcnt 0x0
	v_fmac_f64_e32 v[40:41], v[2:3], v[6:7]
	v_fmac_f64_e32 v[42:43], v[4:5], v[6:7]
	s_delay_alu instid0(VALU_DEP_2) | instskip(NEXT) | instid1(VALU_DEP_2)
	v_fma_f64 v[40:41], -v[4:5], v[8:9], v[40:41]
	v_fmac_f64_e32 v[42:43], v[2:3], v[8:9]
	global_store_b128 v[20:21], v[40:43], off
	s_branch .LBB104_40
.LBB104_85:
	s_load_b128 s[0:3], s[0:1], 0x48
	v_cmp_eq_u32_e32 vcc_lo, 0xff, v0
	s_and_b32 exec_lo, exec_lo, vcc_lo
	s_cbranch_execz .LBB104_87
; %bb.86:
	v_dual_mul_f64 v[12:13], v[8:9], -v[4:5] :: v_dual_mov_b32 v0, 0
	v_mul_f64_e32 v[14:15], v[2:3], v[8:9]
	s_lshl_b64 s[4:5], s[28:29], 3
	s_lshl_b64 s[6:7], s[28:29], 4
	s_wait_kmcnt 0x0
	s_add_nc_u64 s[0:1], s[0:1], s[4:5]
	s_add_nc_u64 s[2:3], s[2:3], s[6:7]
	s_delay_alu instid0(VALU_DEP_2) | instskip(NEXT) | instid1(VALU_DEP_2)
	v_fmac_f64_e32 v[12:13], v[2:3], v[6:7]
	v_fmac_f64_e32 v[14:15], v[4:5], v[6:7]
	s_clause 0x1
	global_store_b64 v0, v[10:11], s[0:1] th:TH_STORE_NT
	global_store_b128 v0, v[12:15], s[2:3] th:TH_STORE_NT
.LBB104_87:
	s_endpgm
	.section	.rodata,"a",@progbits
	.p2align	6, 0x0
	.amdhsa_kernel _ZN9rocsparseL22coomvn_segmented_loopsILj256El21rocsparse_complex_numIfES1_IdES3_S3_EEvlT0_NS_24const_host_device_scalarIT4_EEPKS4_S9_PKT1_PKT2_PT3_PS4_PS6_21rocsparse_index_base_b
		.amdhsa_group_segment_fixed_size 6144
		.amdhsa_private_segment_fixed_size 0
		.amdhsa_kernarg_size 96
		.amdhsa_user_sgpr_count 2
		.amdhsa_user_sgpr_dispatch_ptr 0
		.amdhsa_user_sgpr_queue_ptr 0
		.amdhsa_user_sgpr_kernarg_segment_ptr 1
		.amdhsa_user_sgpr_dispatch_id 0
		.amdhsa_user_sgpr_kernarg_preload_length 0
		.amdhsa_user_sgpr_kernarg_preload_offset 0
		.amdhsa_user_sgpr_private_segment_size 0
		.amdhsa_wavefront_size32 1
		.amdhsa_uses_dynamic_stack 0
		.amdhsa_enable_private_segment 0
		.amdhsa_system_sgpr_workgroup_id_x 1
		.amdhsa_system_sgpr_workgroup_id_y 0
		.amdhsa_system_sgpr_workgroup_id_z 0
		.amdhsa_system_sgpr_workgroup_info 0
		.amdhsa_system_vgpr_workitem_id 0
		.amdhsa_next_free_vgpr 48
		.amdhsa_next_free_sgpr 36
		.amdhsa_named_barrier_count 0
		.amdhsa_reserve_vcc 1
		.amdhsa_float_round_mode_32 0
		.amdhsa_float_round_mode_16_64 0
		.amdhsa_float_denorm_mode_32 3
		.amdhsa_float_denorm_mode_16_64 3
		.amdhsa_fp16_overflow 0
		.amdhsa_memory_ordered 1
		.amdhsa_forward_progress 1
		.amdhsa_inst_pref_size 24
		.amdhsa_round_robin_scheduling 0
		.amdhsa_exception_fp_ieee_invalid_op 0
		.amdhsa_exception_fp_denorm_src 0
		.amdhsa_exception_fp_ieee_div_zero 0
		.amdhsa_exception_fp_ieee_overflow 0
		.amdhsa_exception_fp_ieee_underflow 0
		.amdhsa_exception_fp_ieee_inexact 0
		.amdhsa_exception_int_div_zero 0
	.end_amdhsa_kernel
	.section	.text._ZN9rocsparseL22coomvn_segmented_loopsILj256El21rocsparse_complex_numIfES1_IdES3_S3_EEvlT0_NS_24const_host_device_scalarIT4_EEPKS4_S9_PKT1_PKT2_PT3_PS4_PS6_21rocsparse_index_base_b,"axG",@progbits,_ZN9rocsparseL22coomvn_segmented_loopsILj256El21rocsparse_complex_numIfES1_IdES3_S3_EEvlT0_NS_24const_host_device_scalarIT4_EEPKS4_S9_PKT1_PKT2_PT3_PS4_PS6_21rocsparse_index_base_b,comdat
.Lfunc_end104:
	.size	_ZN9rocsparseL22coomvn_segmented_loopsILj256El21rocsparse_complex_numIfES1_IdES3_S3_EEvlT0_NS_24const_host_device_scalarIT4_EEPKS4_S9_PKT1_PKT2_PT3_PS4_PS6_21rocsparse_index_base_b, .Lfunc_end104-_ZN9rocsparseL22coomvn_segmented_loopsILj256El21rocsparse_complex_numIfES1_IdES3_S3_EEvlT0_NS_24const_host_device_scalarIT4_EEPKS4_S9_PKT1_PKT2_PT3_PS4_PS6_21rocsparse_index_base_b
                                        ; -- End function
	.set _ZN9rocsparseL22coomvn_segmented_loopsILj256El21rocsparse_complex_numIfES1_IdES3_S3_EEvlT0_NS_24const_host_device_scalarIT4_EEPKS4_S9_PKT1_PKT2_PT3_PS4_PS6_21rocsparse_index_base_b.num_vgpr, 48
	.set _ZN9rocsparseL22coomvn_segmented_loopsILj256El21rocsparse_complex_numIfES1_IdES3_S3_EEvlT0_NS_24const_host_device_scalarIT4_EEPKS4_S9_PKT1_PKT2_PT3_PS4_PS6_21rocsparse_index_base_b.num_agpr, 0
	.set _ZN9rocsparseL22coomvn_segmented_loopsILj256El21rocsparse_complex_numIfES1_IdES3_S3_EEvlT0_NS_24const_host_device_scalarIT4_EEPKS4_S9_PKT1_PKT2_PT3_PS4_PS6_21rocsparse_index_base_b.numbered_sgpr, 36
	.set _ZN9rocsparseL22coomvn_segmented_loopsILj256El21rocsparse_complex_numIfES1_IdES3_S3_EEvlT0_NS_24const_host_device_scalarIT4_EEPKS4_S9_PKT1_PKT2_PT3_PS4_PS6_21rocsparse_index_base_b.num_named_barrier, 0
	.set _ZN9rocsparseL22coomvn_segmented_loopsILj256El21rocsparse_complex_numIfES1_IdES3_S3_EEvlT0_NS_24const_host_device_scalarIT4_EEPKS4_S9_PKT1_PKT2_PT3_PS4_PS6_21rocsparse_index_base_b.private_seg_size, 0
	.set _ZN9rocsparseL22coomvn_segmented_loopsILj256El21rocsparse_complex_numIfES1_IdES3_S3_EEvlT0_NS_24const_host_device_scalarIT4_EEPKS4_S9_PKT1_PKT2_PT3_PS4_PS6_21rocsparse_index_base_b.uses_vcc, 1
	.set _ZN9rocsparseL22coomvn_segmented_loopsILj256El21rocsparse_complex_numIfES1_IdES3_S3_EEvlT0_NS_24const_host_device_scalarIT4_EEPKS4_S9_PKT1_PKT2_PT3_PS4_PS6_21rocsparse_index_base_b.uses_flat_scratch, 0
	.set _ZN9rocsparseL22coomvn_segmented_loopsILj256El21rocsparse_complex_numIfES1_IdES3_S3_EEvlT0_NS_24const_host_device_scalarIT4_EEPKS4_S9_PKT1_PKT2_PT3_PS4_PS6_21rocsparse_index_base_b.has_dyn_sized_stack, 0
	.set _ZN9rocsparseL22coomvn_segmented_loopsILj256El21rocsparse_complex_numIfES1_IdES3_S3_EEvlT0_NS_24const_host_device_scalarIT4_EEPKS4_S9_PKT1_PKT2_PT3_PS4_PS6_21rocsparse_index_base_b.has_recursion, 0
	.set _ZN9rocsparseL22coomvn_segmented_loopsILj256El21rocsparse_complex_numIfES1_IdES3_S3_EEvlT0_NS_24const_host_device_scalarIT4_EEPKS4_S9_PKT1_PKT2_PT3_PS4_PS6_21rocsparse_index_base_b.has_indirect_call, 0
	.section	.AMDGPU.csdata,"",@progbits
; Kernel info:
; codeLenInByte = 3060
; TotalNumSgprs: 38
; NumVgprs: 48
; ScratchSize: 0
; MemoryBound: 1
; FloatMode: 240
; IeeeMode: 1
; LDSByteSize: 6144 bytes/workgroup (compile time only)
; SGPRBlocks: 0
; VGPRBlocks: 2
; NumSGPRsForWavesPerEU: 38
; NumVGPRsForWavesPerEU: 48
; NamedBarCnt: 0
; Occupancy: 16
; WaveLimiterHint : 1
; COMPUTE_PGM_RSRC2:SCRATCH_EN: 0
; COMPUTE_PGM_RSRC2:USER_SGPR: 2
; COMPUTE_PGM_RSRC2:TRAP_HANDLER: 0
; COMPUTE_PGM_RSRC2:TGID_X_EN: 1
; COMPUTE_PGM_RSRC2:TGID_Y_EN: 0
; COMPUTE_PGM_RSRC2:TGID_Z_EN: 0
; COMPUTE_PGM_RSRC2:TIDIG_COMP_CNT: 0
	.section	.text._ZN9rocsparseL13coomvt_kernelILj1024El21rocsparse_complex_numIfES1_IdES3_S3_EEv20rocsparse_operation_lNS_24const_host_device_scalarIT4_EEPKT0_SA_PKT1_PKT2_PT3_21rocsparse_index_base_b,"axG",@progbits,_ZN9rocsparseL13coomvt_kernelILj1024El21rocsparse_complex_numIfES1_IdES3_S3_EEv20rocsparse_operation_lNS_24const_host_device_scalarIT4_EEPKT0_SA_PKT1_PKT2_PT3_21rocsparse_index_base_b,comdat
	.globl	_ZN9rocsparseL13coomvt_kernelILj1024El21rocsparse_complex_numIfES1_IdES3_S3_EEv20rocsparse_operation_lNS_24const_host_device_scalarIT4_EEPKT0_SA_PKT1_PKT2_PT3_21rocsparse_index_base_b ; -- Begin function _ZN9rocsparseL13coomvt_kernelILj1024El21rocsparse_complex_numIfES1_IdES3_S3_EEv20rocsparse_operation_lNS_24const_host_device_scalarIT4_EEPKT0_SA_PKT1_PKT2_PT3_21rocsparse_index_base_b
	.p2align	8
	.type	_ZN9rocsparseL13coomvt_kernelILj1024El21rocsparse_complex_numIfES1_IdES3_S3_EEv20rocsparse_operation_lNS_24const_host_device_scalarIT4_EEPKT0_SA_PKT1_PKT2_PT3_21rocsparse_index_base_b,@function
_ZN9rocsparseL13coomvt_kernelILj1024El21rocsparse_complex_numIfES1_IdES3_S3_EEv20rocsparse_operation_lNS_24const_host_device_scalarIT4_EEPKT0_SA_PKT1_PKT2_PT3_21rocsparse_index_base_b: ; @_ZN9rocsparseL13coomvt_kernelILj1024El21rocsparse_complex_numIfES1_IdES3_S3_EEv20rocsparse_operation_lNS_24const_host_device_scalarIT4_EEPKT0_SA_PKT1_PKT2_PT3_21rocsparse_index_base_b
; %bb.0:
	s_clause 0x1
	s_load_b64 s[8:9], s[0:1], 0x48
	s_load_b128 s[4:7], s[0:1], 0x8
	v_mov_b32_e32 v1, 0
	s_add_nc_u64 s[2:3], s[0:1], 16
	s_wait_kmcnt 0x0
	s_bitcmp1_b32 s9, 0
	s_cselect_b32 s3, s3, s7
	s_cselect_b32 s2, s2, s6
	flat_load_b128 v[2:5], v1, s[2:3]
	s_wait_loadcnt_dscnt 0x0
	v_cmp_neq_f64_e32 vcc_lo, 0, v[2:3]
	v_cmp_neq_f64_e64 s2, 0, v[4:5]
	s_or_b32 s2, vcc_lo, s2
	s_delay_alu instid0(SALU_CYCLE_1)
	s_and_saveexec_b32 s3, s2
	s_cbranch_execz .LBB105_3
; %bb.1:
	s_load_b32 s2, s[0:1], 0x5c
	s_bfe_u32 s3, ttmp6, 0x4000c
	s_and_b32 s6, ttmp6, 15
	s_add_co_i32 s3, s3, 1
	s_getreg_b32 s7, hwreg(HW_REG_IB_STS2, 6, 4)
	s_mul_i32 s3, ttmp9, s3
	s_mov_b32 s9, 0
	s_add_co_i32 s6, s6, s3
	s_wait_kmcnt 0x0
	s_and_b32 s2, s2, 0xffff
	s_cmp_eq_u32 s7, 0
	s_cselect_b32 s3, ttmp9, s6
	s_delay_alu instid0(SALU_CYCLE_1) | instskip(NEXT) | instid1(VALU_DEP_1)
	v_mad_u32 v0, s3, s2, v0
	v_cmp_gt_i64_e32 vcc_lo, s[4:5], v[0:1]
	s_and_b32 exec_lo, exec_lo, vcc_lo
	s_cbranch_execz .LBB105_3
; %bb.2:
	s_load_b256 s[12:19], s[0:1], 0x20
	v_lshlrev_b64_e32 v[0:1], 3, v[0:1]
	s_load_b32 s2, s[0:1], 0x0
	s_wait_kmcnt 0x0
	s_delay_alu instid0(VALU_DEP_1)
	v_add_nc_u64_e32 v[6:7], s[12:13], v[0:1]
	v_add_nc_u64_e32 v[8:9], s[16:17], v[0:1]
	v_add_nc_u64_e32 v[0:1], s[14:15], v[0:1]
	s_cmp_eq_u32 s2, 0x71
	s_load_b64 s[0:1], s[0:1], 0x40
	s_cselect_b32 s2, -1, 0
	global_load_b64 v[6:7], v[6:7], off
	global_load_b64 v[10:11], v[8:9], off
	;; [unrolled: 1-line block ×3, first 2 shown]
	s_wait_loadcnt 0x2
	s_wait_xcnt 0x2
	v_sub_nc_u64_e64 v[6:7], v[6:7], s[8:9]
	s_wait_loadcnt 0x1
	v_cndmask_b32_e64 v11, v11, -v11, s2
	s_wait_loadcnt 0x0
	v_sub_nc_u64_e64 v[0:1], v[0:1], s[8:9]
	s_delay_alu instid0(VALU_DEP_2) | instskip(NEXT) | instid1(VALU_DEP_4)
	v_cvt_f64_f32_e32 v[12:13], v11
	v_lshl_add_u64 v[6:7], v[6:7], 4, s[18:19]
	v_cvt_f64_f32_e32 v[10:11], v10
	s_wait_kmcnt 0x0
	s_delay_alu instid0(VALU_DEP_4) | instskip(SKIP_3) | instid1(VALU_DEP_2)
	v_lshl_add_u64 v[0:1], v[0:1], 4, s[0:1]
	global_load_b128 v[6:9], v[6:7], off
	v_mul_f64_e32 v[14:15], v[2:3], v[12:13]
	v_mul_f64_e64 v[12:13], -v[4:5], v[12:13]
	v_fmac_f64_e32 v[14:15], v[4:5], v[10:11]
	s_delay_alu instid0(VALU_DEP_2) | instskip(SKIP_1) | instid1(VALU_DEP_2)
	v_fmac_f64_e32 v[12:13], v[2:3], v[10:11]
	s_wait_loadcnt 0x0
	v_mul_f64_e64 v[2:3], v[8:9], -v[14:15]
	s_delay_alu instid0(VALU_DEP_2) | instskip(NEXT) | instid1(VALU_DEP_2)
	v_mul_f64_e32 v[4:5], v[8:9], v[12:13]
	v_fmac_f64_e32 v[2:3], v[12:13], v[6:7]
	s_delay_alu instid0(VALU_DEP_2)
	v_fmac_f64_e32 v[4:5], v[14:15], v[6:7]
	global_atomic_add_f64 v[0:1], v[2:3], off scope:SCOPE_DEV
	s_wait_xcnt 0x0
	global_atomic_add_f64 v[0:1], v[4:5], off offset:8 scope:SCOPE_DEV
.LBB105_3:
	s_endpgm
	.section	.rodata,"a",@progbits
	.p2align	6, 0x0
	.amdhsa_kernel _ZN9rocsparseL13coomvt_kernelILj1024El21rocsparse_complex_numIfES1_IdES3_S3_EEv20rocsparse_operation_lNS_24const_host_device_scalarIT4_EEPKT0_SA_PKT1_PKT2_PT3_21rocsparse_index_base_b
		.amdhsa_group_segment_fixed_size 0
		.amdhsa_private_segment_fixed_size 0
		.amdhsa_kernarg_size 336
		.amdhsa_user_sgpr_count 2
		.amdhsa_user_sgpr_dispatch_ptr 0
		.amdhsa_user_sgpr_queue_ptr 0
		.amdhsa_user_sgpr_kernarg_segment_ptr 1
		.amdhsa_user_sgpr_dispatch_id 0
		.amdhsa_user_sgpr_kernarg_preload_length 0
		.amdhsa_user_sgpr_kernarg_preload_offset 0
		.amdhsa_user_sgpr_private_segment_size 0
		.amdhsa_wavefront_size32 1
		.amdhsa_uses_dynamic_stack 0
		.amdhsa_enable_private_segment 0
		.amdhsa_system_sgpr_workgroup_id_x 1
		.amdhsa_system_sgpr_workgroup_id_y 0
		.amdhsa_system_sgpr_workgroup_id_z 0
		.amdhsa_system_sgpr_workgroup_info 0
		.amdhsa_system_vgpr_workitem_id 0
		.amdhsa_next_free_vgpr 16
		.amdhsa_next_free_sgpr 20
		.amdhsa_named_barrier_count 0
		.amdhsa_reserve_vcc 1
		.amdhsa_float_round_mode_32 0
		.amdhsa_float_round_mode_16_64 0
		.amdhsa_float_denorm_mode_32 3
		.amdhsa_float_denorm_mode_16_64 3
		.amdhsa_fp16_overflow 0
		.amdhsa_memory_ordered 1
		.amdhsa_forward_progress 1
		.amdhsa_inst_pref_size 4
		.amdhsa_round_robin_scheduling 0
		.amdhsa_exception_fp_ieee_invalid_op 0
		.amdhsa_exception_fp_denorm_src 0
		.amdhsa_exception_fp_ieee_div_zero 0
		.amdhsa_exception_fp_ieee_overflow 0
		.amdhsa_exception_fp_ieee_underflow 0
		.amdhsa_exception_fp_ieee_inexact 0
		.amdhsa_exception_int_div_zero 0
	.end_amdhsa_kernel
	.section	.text._ZN9rocsparseL13coomvt_kernelILj1024El21rocsparse_complex_numIfES1_IdES3_S3_EEv20rocsparse_operation_lNS_24const_host_device_scalarIT4_EEPKT0_SA_PKT1_PKT2_PT3_21rocsparse_index_base_b,"axG",@progbits,_ZN9rocsparseL13coomvt_kernelILj1024El21rocsparse_complex_numIfES1_IdES3_S3_EEv20rocsparse_operation_lNS_24const_host_device_scalarIT4_EEPKT0_SA_PKT1_PKT2_PT3_21rocsparse_index_base_b,comdat
.Lfunc_end105:
	.size	_ZN9rocsparseL13coomvt_kernelILj1024El21rocsparse_complex_numIfES1_IdES3_S3_EEv20rocsparse_operation_lNS_24const_host_device_scalarIT4_EEPKT0_SA_PKT1_PKT2_PT3_21rocsparse_index_base_b, .Lfunc_end105-_ZN9rocsparseL13coomvt_kernelILj1024El21rocsparse_complex_numIfES1_IdES3_S3_EEv20rocsparse_operation_lNS_24const_host_device_scalarIT4_EEPKT0_SA_PKT1_PKT2_PT3_21rocsparse_index_base_b
                                        ; -- End function
	.set _ZN9rocsparseL13coomvt_kernelILj1024El21rocsparse_complex_numIfES1_IdES3_S3_EEv20rocsparse_operation_lNS_24const_host_device_scalarIT4_EEPKT0_SA_PKT1_PKT2_PT3_21rocsparse_index_base_b.num_vgpr, 16
	.set _ZN9rocsparseL13coomvt_kernelILj1024El21rocsparse_complex_numIfES1_IdES3_S3_EEv20rocsparse_operation_lNS_24const_host_device_scalarIT4_EEPKT0_SA_PKT1_PKT2_PT3_21rocsparse_index_base_b.num_agpr, 0
	.set _ZN9rocsparseL13coomvt_kernelILj1024El21rocsparse_complex_numIfES1_IdES3_S3_EEv20rocsparse_operation_lNS_24const_host_device_scalarIT4_EEPKT0_SA_PKT1_PKT2_PT3_21rocsparse_index_base_b.numbered_sgpr, 20
	.set _ZN9rocsparseL13coomvt_kernelILj1024El21rocsparse_complex_numIfES1_IdES3_S3_EEv20rocsparse_operation_lNS_24const_host_device_scalarIT4_EEPKT0_SA_PKT1_PKT2_PT3_21rocsparse_index_base_b.num_named_barrier, 0
	.set _ZN9rocsparseL13coomvt_kernelILj1024El21rocsparse_complex_numIfES1_IdES3_S3_EEv20rocsparse_operation_lNS_24const_host_device_scalarIT4_EEPKT0_SA_PKT1_PKT2_PT3_21rocsparse_index_base_b.private_seg_size, 0
	.set _ZN9rocsparseL13coomvt_kernelILj1024El21rocsparse_complex_numIfES1_IdES3_S3_EEv20rocsparse_operation_lNS_24const_host_device_scalarIT4_EEPKT0_SA_PKT1_PKT2_PT3_21rocsparse_index_base_b.uses_vcc, 1
	.set _ZN9rocsparseL13coomvt_kernelILj1024El21rocsparse_complex_numIfES1_IdES3_S3_EEv20rocsparse_operation_lNS_24const_host_device_scalarIT4_EEPKT0_SA_PKT1_PKT2_PT3_21rocsparse_index_base_b.uses_flat_scratch, 0
	.set _ZN9rocsparseL13coomvt_kernelILj1024El21rocsparse_complex_numIfES1_IdES3_S3_EEv20rocsparse_operation_lNS_24const_host_device_scalarIT4_EEPKT0_SA_PKT1_PKT2_PT3_21rocsparse_index_base_b.has_dyn_sized_stack, 0
	.set _ZN9rocsparseL13coomvt_kernelILj1024El21rocsparse_complex_numIfES1_IdES3_S3_EEv20rocsparse_operation_lNS_24const_host_device_scalarIT4_EEPKT0_SA_PKT1_PKT2_PT3_21rocsparse_index_base_b.has_recursion, 0
	.set _ZN9rocsparseL13coomvt_kernelILj1024El21rocsparse_complex_numIfES1_IdES3_S3_EEv20rocsparse_operation_lNS_24const_host_device_scalarIT4_EEPKT0_SA_PKT1_PKT2_PT3_21rocsparse_index_base_b.has_indirect_call, 0
	.section	.AMDGPU.csdata,"",@progbits
; Kernel info:
; codeLenInByte = 444
; TotalNumSgprs: 22
; NumVgprs: 16
; ScratchSize: 0
; MemoryBound: 0
; FloatMode: 240
; IeeeMode: 1
; LDSByteSize: 0 bytes/workgroup (compile time only)
; SGPRBlocks: 0
; VGPRBlocks: 0
; NumSGPRsForWavesPerEU: 22
; NumVGPRsForWavesPerEU: 16
; NamedBarCnt: 0
; Occupancy: 16
; WaveLimiterHint : 1
; COMPUTE_PGM_RSRC2:SCRATCH_EN: 0
; COMPUTE_PGM_RSRC2:USER_SGPR: 2
; COMPUTE_PGM_RSRC2:TRAP_HANDLER: 0
; COMPUTE_PGM_RSRC2:TGID_X_EN: 1
; COMPUTE_PGM_RSRC2:TGID_Y_EN: 0
; COMPUTE_PGM_RSRC2:TGID_Z_EN: 0
; COMPUTE_PGM_RSRC2:TIDIG_COMP_CNT: 0
	.section	.text._ZN9rocsparseL19coomvn_atomic_loopsILj256ELj1El21rocsparse_complex_numIfES1_IdES3_S3_EEvlNS_24const_host_device_scalarIT5_EEPKT1_S9_PKT2_PKT3_PT4_21rocsparse_index_base_b,"axG",@progbits,_ZN9rocsparseL19coomvn_atomic_loopsILj256ELj1El21rocsparse_complex_numIfES1_IdES3_S3_EEvlNS_24const_host_device_scalarIT5_EEPKT1_S9_PKT2_PKT3_PT4_21rocsparse_index_base_b,comdat
	.globl	_ZN9rocsparseL19coomvn_atomic_loopsILj256ELj1El21rocsparse_complex_numIfES1_IdES3_S3_EEvlNS_24const_host_device_scalarIT5_EEPKT1_S9_PKT2_PKT3_PT4_21rocsparse_index_base_b ; -- Begin function _ZN9rocsparseL19coomvn_atomic_loopsILj256ELj1El21rocsparse_complex_numIfES1_IdES3_S3_EEvlNS_24const_host_device_scalarIT5_EEPKT1_S9_PKT2_PKT3_PT4_21rocsparse_index_base_b
	.p2align	8
	.type	_ZN9rocsparseL19coomvn_atomic_loopsILj256ELj1El21rocsparse_complex_numIfES1_IdES3_S3_EEvlNS_24const_host_device_scalarIT5_EEPKT1_S9_PKT2_PKT3_PT4_21rocsparse_index_base_b,@function
_ZN9rocsparseL19coomvn_atomic_loopsILj256ELj1El21rocsparse_complex_numIfES1_IdES3_S3_EEvlNS_24const_host_device_scalarIT5_EEPKT1_S9_PKT2_PKT3_PT4_21rocsparse_index_base_b: ; @_ZN9rocsparseL19coomvn_atomic_loopsILj256ELj1El21rocsparse_complex_numIfES1_IdES3_S3_EEvlNS_24const_host_device_scalarIT5_EEPKT1_S9_PKT2_PKT3_PT4_21rocsparse_index_base_b
; %bb.0:
	s_clause 0x1
	s_load_b64 s[8:9], s[0:1], 0x40
	s_load_b128 s[4:7], s[0:1], 0x0
	v_mov_b32_e32 v13, 0
	s_or_b64 s[2:3], s[0:1], 8
	s_wait_kmcnt 0x0
	s_bitcmp1_b32 s9, 0
	s_cselect_b32 s3, s3, s7
	s_cselect_b32 s2, s2, s6
	flat_load_b128 v[2:5], v13, s[2:3]
	s_wait_loadcnt_dscnt 0x0
	v_cmp_neq_f64_e32 vcc_lo, 0, v[2:3]
	v_cmp_neq_f64_e64 s2, 0, v[4:5]
	s_or_b32 s2, vcc_lo, s2
	s_delay_alu instid0(SALU_CYCLE_1)
	s_and_saveexec_b32 s3, s2
	s_cbranch_execz .LBB106_40
; %bb.1:
	s_bfe_u32 s2, ttmp6, 0x4000c
	v_mov_b64_e32 v[6:7], 0
	s_add_co_i32 s2, s2, 1
	s_and_b32 s3, ttmp6, 15
	s_mul_i32 s2, ttmp9, s2
	s_getreg_b32 s6, hwreg(HW_REG_IB_STS2, 6, 4)
	s_add_co_i32 s3, s3, s2
	s_cmp_eq_u32 s6, 0
	v_mov_b64_e32 v[10:11], -1
	s_cselect_b32 s2, ttmp9, s3
	v_mov_b64_e32 v[8:9], v[6:7]
	v_lshl_or_b32 v12, s2, 8, v0
	s_mov_b32 s9, 0
	s_mov_b32 s2, exec_lo
	s_delay_alu instid0(VALU_DEP_1)
	v_cmpx_gt_i64_e64 s[4:5], v[12:13]
	s_cbranch_execz .LBB106_3
; %bb.2:
	s_load_b256 s[12:19], s[0:1], 0x18
	v_lshlrev_b64_e32 v[6:7], 3, v[12:13]
	s_wait_kmcnt 0x0
	s_delay_alu instid0(VALU_DEP_1)
	v_add_nc_u64_e32 v[8:9], s[14:15], v[6:7]
	v_add_nc_u64_e32 v[10:11], s[16:17], v[6:7]
	;; [unrolled: 1-line block ×3, first 2 shown]
	global_load_b64 v[8:9], v[8:9], off th:TH_LOAD_NT
	global_load_b64 v[14:15], v[10:11], off th:TH_LOAD_NT
	;; [unrolled: 1-line block ×3, first 2 shown]
	s_wait_loadcnt 0x2
	s_wait_xcnt 0x2
	v_sub_nc_u64_e64 v[8:9], v[8:9], s[8:9]
	s_wait_loadcnt 0x1
	v_cvt_f64_f32_e32 v[18:19], v15
	v_cvt_f64_f32_e32 v[14:15], v14
	s_delay_alu instid0(VALU_DEP_3) | instskip(SKIP_4) | instid1(VALU_DEP_2)
	v_lshl_add_u64 v[8:9], v[8:9], 4, s[18:19]
	global_load_b128 v[10:13], v[8:9], off
	s_wait_loadcnt 0x0
	v_mul_f64_e64 v[6:7], v[12:13], -v[18:19]
	v_mul_f64_e32 v[8:9], v[12:13], v[14:15]
	v_fmac_f64_e32 v[6:7], v[14:15], v[10:11]
	s_delay_alu instid0(VALU_DEP_2)
	v_fmac_f64_e32 v[8:9], v[18:19], v[10:11]
	v_sub_nc_u64_e64 v[10:11], v[16:17], s[8:9]
.LBB106_3:
	s_or_b32 exec_lo, exec_lo, s2
	v_dual_lshlrev_b32 v13, 3, v0 :: v_dual_lshlrev_b32 v12, 4, v0
	s_mov_b32 s2, exec_lo
	ds_store_b64 v13, v[10:11] offset:4096
	ds_store_b128 v12, v[6:9]
	v_or_b32_e32 v1, 0x1000, v13
	s_wait_dscnt 0x0
	s_barrier_signal -1
	s_barrier_wait -1
	v_cmpx_ne_u32_e32 0, v0
	s_cbranch_execz .LBB106_7
; %bb.4:
	v_add_nc_u32_e32 v13, -8, v1
	s_mov_b32 s3, exec_lo
	ds_load_b64 v[14:15], v13
	s_wait_dscnt 0x0
	v_cmpx_eq_u64_e64 v[10:11], v[14:15]
	s_cbranch_execz .LBB106_6
; %bb.5:
	v_add_nc_u32_e32 v13, -16, v12
	ds_load_b128 v[14:17], v13
	s_wait_dscnt 0x0
	v_add_f64_e32 v[6:7], v[6:7], v[14:15]
	v_add_f64_e32 v[8:9], v[8:9], v[16:17]
.LBB106_6:
	s_or_b32 exec_lo, exec_lo, s3
.LBB106_7:
	s_delay_alu instid0(SALU_CYCLE_1) | instskip(NEXT) | instid1(SALU_CYCLE_1)
	s_or_b32 exec_lo, exec_lo, s2
	s_mov_b32 s2, exec_lo
	s_barrier_signal -1
	s_barrier_wait -1
	ds_store_b128 v12, v[6:9]
	s_wait_dscnt 0x0
	s_barrier_signal -1
	s_barrier_wait -1
	v_cmpx_lt_u32_e32 1, v0
	s_cbranch_execz .LBB106_11
; %bb.8:
	v_add_nc_u32_e32 v13, -16, v1
	s_mov_b32 s3, exec_lo
	ds_load_b64 v[14:15], v13
	s_wait_dscnt 0x0
	v_cmpx_eq_u64_e64 v[10:11], v[14:15]
	s_cbranch_execz .LBB106_10
; %bb.9:
	v_subrev_nc_u32_e32 v13, 32, v12
	ds_load_b128 v[14:17], v13
	s_wait_dscnt 0x0
	v_add_f64_e32 v[6:7], v[6:7], v[14:15]
	v_add_f64_e32 v[8:9], v[8:9], v[16:17]
.LBB106_10:
	s_or_b32 exec_lo, exec_lo, s3
.LBB106_11:
	s_delay_alu instid0(SALU_CYCLE_1) | instskip(NEXT) | instid1(SALU_CYCLE_1)
	s_or_b32 exec_lo, exec_lo, s2
	s_mov_b32 s2, exec_lo
	s_barrier_signal -1
	s_barrier_wait -1
	ds_store_b128 v12, v[6:9]
	s_wait_dscnt 0x0
	s_barrier_signal -1
	s_barrier_wait -1
	v_cmpx_lt_u32_e32 3, v0
	s_cbranch_execz .LBB106_15
; %bb.12:
	v_subrev_nc_u32_e32 v13, 32, v1
	s_mov_b32 s3, exec_lo
	ds_load_b64 v[14:15], v13
	s_wait_dscnt 0x0
	v_cmpx_eq_u64_e64 v[10:11], v[14:15]
	s_cbranch_execz .LBB106_14
; %bb.13:
	v_subrev_nc_u32_e32 v13, 64, v12
	ds_load_b128 v[14:17], v13
	s_wait_dscnt 0x0
	v_add_f64_e32 v[6:7], v[6:7], v[14:15]
	v_add_f64_e32 v[8:9], v[8:9], v[16:17]
.LBB106_14:
	s_or_b32 exec_lo, exec_lo, s3
.LBB106_15:
	s_delay_alu instid0(SALU_CYCLE_1) | instskip(NEXT) | instid1(SALU_CYCLE_1)
	s_or_b32 exec_lo, exec_lo, s2
	s_mov_b32 s2, exec_lo
	s_barrier_signal -1
	s_barrier_wait -1
	ds_store_b128 v12, v[6:9]
	s_wait_dscnt 0x0
	s_barrier_signal -1
	s_barrier_wait -1
	v_cmpx_lt_u32_e32 7, v0
	s_cbranch_execz .LBB106_19
; %bb.16:
	v_subrev_nc_u32_e32 v13, 64, v1
	s_mov_b32 s3, exec_lo
	ds_load_b64 v[14:15], v13
	s_wait_dscnt 0x0
	v_cmpx_eq_u64_e64 v[10:11], v[14:15]
	s_cbranch_execz .LBB106_18
; %bb.17:
	v_add_nc_u32_e32 v13, 0xffffff80, v12
	ds_load_b128 v[14:17], v13
	s_wait_dscnt 0x0
	v_add_f64_e32 v[6:7], v[6:7], v[14:15]
	v_add_f64_e32 v[8:9], v[8:9], v[16:17]
.LBB106_18:
	s_or_b32 exec_lo, exec_lo, s3
.LBB106_19:
	s_delay_alu instid0(SALU_CYCLE_1) | instskip(NEXT) | instid1(SALU_CYCLE_1)
	s_or_b32 exec_lo, exec_lo, s2
	s_mov_b32 s2, exec_lo
	s_barrier_signal -1
	s_barrier_wait -1
	ds_store_b128 v12, v[6:9]
	s_wait_dscnt 0x0
	s_barrier_signal -1
	s_barrier_wait -1
	v_cmpx_lt_u32_e32 15, v0
	s_cbranch_execz .LBB106_23
; %bb.20:
	v_add_nc_u32_e32 v13, 0xffffff80, v1
	s_mov_b32 s3, exec_lo
	ds_load_b64 v[14:15], v13
	s_wait_dscnt 0x0
	v_cmpx_eq_u64_e64 v[10:11], v[14:15]
	s_cbranch_execz .LBB106_22
; %bb.21:
	v_add_nc_u32_e32 v13, 0xffffff00, v12
	ds_load_b128 v[14:17], v13
	s_wait_dscnt 0x0
	v_add_f64_e32 v[6:7], v[6:7], v[14:15]
	v_add_f64_e32 v[8:9], v[8:9], v[16:17]
.LBB106_22:
	s_or_b32 exec_lo, exec_lo, s3
.LBB106_23:
	s_delay_alu instid0(SALU_CYCLE_1) | instskip(NEXT) | instid1(SALU_CYCLE_1)
	s_or_b32 exec_lo, exec_lo, s2
	s_mov_b32 s2, exec_lo
	s_barrier_signal -1
	s_barrier_wait -1
	ds_store_b128 v12, v[6:9]
	s_wait_dscnt 0x0
	s_barrier_signal -1
	s_barrier_wait -1
	v_cmpx_lt_u32_e32 31, v0
	s_cbranch_execz .LBB106_27
; %bb.24:
	v_add_nc_u32_e32 v13, 0xffffff00, v1
	s_mov_b32 s3, exec_lo
	ds_load_b64 v[14:15], v13
	s_wait_dscnt 0x0
	v_cmpx_eq_u64_e64 v[10:11], v[14:15]
	s_cbranch_execz .LBB106_26
; %bb.25:
	v_add_nc_u32_e32 v13, 0xfffffe00, v12
	ds_load_b128 v[14:17], v13
	s_wait_dscnt 0x0
	v_add_f64_e32 v[6:7], v[6:7], v[14:15]
	v_add_f64_e32 v[8:9], v[8:9], v[16:17]
.LBB106_26:
	s_or_b32 exec_lo, exec_lo, s3
.LBB106_27:
	;; [unrolled: 27-line block ×4, first 2 shown]
	s_delay_alu instid0(SALU_CYCLE_1)
	s_or_b32 exec_lo, exec_lo, s2
	s_load_b64 s[2:3], s[0:1], 0x38
	s_wait_xcnt 0x0
	s_mov_b32 s1, exec_lo
	s_barrier_signal -1
	s_barrier_wait -1
	ds_store_b128 v12, v[6:9]
	s_wait_dscnt 0x0
	s_barrier_signal -1
	s_barrier_wait -1
	v_cmpx_gt_u32_e32 0xff, v0
	s_cbranch_execz .LBB106_38
; %bb.36:
	ds_load_b64 v[12:13], v1 offset:8
	v_cmp_lt_i64_e64 s0, -1, v[10:11]
	s_wait_dscnt 0x0
	v_cmp_ne_u64_e32 vcc_lo, v[10:11], v[12:13]
	s_and_b32 s0, s0, vcc_lo
	s_delay_alu instid0(SALU_CYCLE_1)
	s_and_b32 exec_lo, exec_lo, s0
	s_cbranch_execz .LBB106_38
; %bb.37:
	v_mul_f64_e64 v[12:13], v[8:9], -v[4:5]
	v_mul_f64_e32 v[14:15], v[2:3], v[8:9]
	s_wait_kmcnt 0x0
	v_lshl_add_u64 v[16:17], v[10:11], 4, s[2:3]
	s_delay_alu instid0(VALU_DEP_3) | instskip(NEXT) | instid1(VALU_DEP_3)
	v_fmac_f64_e32 v[12:13], v[2:3], v[6:7]
	v_fmac_f64_e32 v[14:15], v[4:5], v[6:7]
	global_atomic_add_f64 v[16:17], v[12:13], off scope:SCOPE_DEV
	s_wait_xcnt 0x0
	global_atomic_add_f64 v[16:17], v[14:15], off offset:8 scope:SCOPE_DEV
.LBB106_38:
	s_wait_xcnt 0x0
	s_or_b32 exec_lo, exec_lo, s1
	v_cmp_lt_i64_e32 vcc_lo, -1, v[10:11]
	v_cmp_eq_u32_e64 s0, 0xff, v0
	s_and_b32 s0, s0, vcc_lo
	s_delay_alu instid0(SALU_CYCLE_1)
	s_and_b32 exec_lo, exec_lo, s0
	s_cbranch_execz .LBB106_40
; %bb.39:
	v_mul_f64_e64 v[0:1], v[8:9], -v[4:5]
	v_mul_f64_e32 v[8:9], v[2:3], v[8:9]
	s_delay_alu instid0(VALU_DEP_2) | instskip(NEXT) | instid1(VALU_DEP_2)
	v_fmac_f64_e32 v[0:1], v[2:3], v[6:7]
	v_fmac_f64_e32 v[8:9], v[4:5], v[6:7]
	s_wait_kmcnt 0x0
	v_lshl_add_u64 v[2:3], v[10:11], 4, s[2:3]
	global_atomic_add_f64 v[2:3], v[0:1], off scope:SCOPE_DEV
	s_wait_xcnt 0x0
	global_atomic_add_f64 v[2:3], v[8:9], off offset:8 scope:SCOPE_DEV
.LBB106_40:
	s_endpgm
	.section	.rodata,"a",@progbits
	.p2align	6, 0x0
	.amdhsa_kernel _ZN9rocsparseL19coomvn_atomic_loopsILj256ELj1El21rocsparse_complex_numIfES1_IdES3_S3_EEvlNS_24const_host_device_scalarIT5_EEPKT1_S9_PKT2_PKT3_PT4_21rocsparse_index_base_b
		.amdhsa_group_segment_fixed_size 6144
		.amdhsa_private_segment_fixed_size 0
		.amdhsa_kernarg_size 72
		.amdhsa_user_sgpr_count 2
		.amdhsa_user_sgpr_dispatch_ptr 0
		.amdhsa_user_sgpr_queue_ptr 0
		.amdhsa_user_sgpr_kernarg_segment_ptr 1
		.amdhsa_user_sgpr_dispatch_id 0
		.amdhsa_user_sgpr_kernarg_preload_length 0
		.amdhsa_user_sgpr_kernarg_preload_offset 0
		.amdhsa_user_sgpr_private_segment_size 0
		.amdhsa_wavefront_size32 1
		.amdhsa_uses_dynamic_stack 0
		.amdhsa_enable_private_segment 0
		.amdhsa_system_sgpr_workgroup_id_x 1
		.amdhsa_system_sgpr_workgroup_id_y 0
		.amdhsa_system_sgpr_workgroup_id_z 0
		.amdhsa_system_sgpr_workgroup_info 0
		.amdhsa_system_vgpr_workitem_id 0
		.amdhsa_next_free_vgpr 20
		.amdhsa_next_free_sgpr 20
		.amdhsa_named_barrier_count 0
		.amdhsa_reserve_vcc 1
		.amdhsa_float_round_mode_32 0
		.amdhsa_float_round_mode_16_64 0
		.amdhsa_float_denorm_mode_32 3
		.amdhsa_float_denorm_mode_16_64 3
		.amdhsa_fp16_overflow 0
		.amdhsa_memory_ordered 1
		.amdhsa_forward_progress 1
		.amdhsa_inst_pref_size 12
		.amdhsa_round_robin_scheduling 0
		.amdhsa_exception_fp_ieee_invalid_op 0
		.amdhsa_exception_fp_denorm_src 0
		.amdhsa_exception_fp_ieee_div_zero 0
		.amdhsa_exception_fp_ieee_overflow 0
		.amdhsa_exception_fp_ieee_underflow 0
		.amdhsa_exception_fp_ieee_inexact 0
		.amdhsa_exception_int_div_zero 0
	.end_amdhsa_kernel
	.section	.text._ZN9rocsparseL19coomvn_atomic_loopsILj256ELj1El21rocsparse_complex_numIfES1_IdES3_S3_EEvlNS_24const_host_device_scalarIT5_EEPKT1_S9_PKT2_PKT3_PT4_21rocsparse_index_base_b,"axG",@progbits,_ZN9rocsparseL19coomvn_atomic_loopsILj256ELj1El21rocsparse_complex_numIfES1_IdES3_S3_EEvlNS_24const_host_device_scalarIT5_EEPKT1_S9_PKT2_PKT3_PT4_21rocsparse_index_base_b,comdat
.Lfunc_end106:
	.size	_ZN9rocsparseL19coomvn_atomic_loopsILj256ELj1El21rocsparse_complex_numIfES1_IdES3_S3_EEvlNS_24const_host_device_scalarIT5_EEPKT1_S9_PKT2_PKT3_PT4_21rocsparse_index_base_b, .Lfunc_end106-_ZN9rocsparseL19coomvn_atomic_loopsILj256ELj1El21rocsparse_complex_numIfES1_IdES3_S3_EEvlNS_24const_host_device_scalarIT5_EEPKT1_S9_PKT2_PKT3_PT4_21rocsparse_index_base_b
                                        ; -- End function
	.set _ZN9rocsparseL19coomvn_atomic_loopsILj256ELj1El21rocsparse_complex_numIfES1_IdES3_S3_EEvlNS_24const_host_device_scalarIT5_EEPKT1_S9_PKT2_PKT3_PT4_21rocsparse_index_base_b.num_vgpr, 20
	.set _ZN9rocsparseL19coomvn_atomic_loopsILj256ELj1El21rocsparse_complex_numIfES1_IdES3_S3_EEvlNS_24const_host_device_scalarIT5_EEPKT1_S9_PKT2_PKT3_PT4_21rocsparse_index_base_b.num_agpr, 0
	.set _ZN9rocsparseL19coomvn_atomic_loopsILj256ELj1El21rocsparse_complex_numIfES1_IdES3_S3_EEvlNS_24const_host_device_scalarIT5_EEPKT1_S9_PKT2_PKT3_PT4_21rocsparse_index_base_b.numbered_sgpr, 20
	.set _ZN9rocsparseL19coomvn_atomic_loopsILj256ELj1El21rocsparse_complex_numIfES1_IdES3_S3_EEvlNS_24const_host_device_scalarIT5_EEPKT1_S9_PKT2_PKT3_PT4_21rocsparse_index_base_b.num_named_barrier, 0
	.set _ZN9rocsparseL19coomvn_atomic_loopsILj256ELj1El21rocsparse_complex_numIfES1_IdES3_S3_EEvlNS_24const_host_device_scalarIT5_EEPKT1_S9_PKT2_PKT3_PT4_21rocsparse_index_base_b.private_seg_size, 0
	.set _ZN9rocsparseL19coomvn_atomic_loopsILj256ELj1El21rocsparse_complex_numIfES1_IdES3_S3_EEvlNS_24const_host_device_scalarIT5_EEPKT1_S9_PKT2_PKT3_PT4_21rocsparse_index_base_b.uses_vcc, 1
	.set _ZN9rocsparseL19coomvn_atomic_loopsILj256ELj1El21rocsparse_complex_numIfES1_IdES3_S3_EEvlNS_24const_host_device_scalarIT5_EEPKT1_S9_PKT2_PKT3_PT4_21rocsparse_index_base_b.uses_flat_scratch, 0
	.set _ZN9rocsparseL19coomvn_atomic_loopsILj256ELj1El21rocsparse_complex_numIfES1_IdES3_S3_EEvlNS_24const_host_device_scalarIT5_EEPKT1_S9_PKT2_PKT3_PT4_21rocsparse_index_base_b.has_dyn_sized_stack, 0
	.set _ZN9rocsparseL19coomvn_atomic_loopsILj256ELj1El21rocsparse_complex_numIfES1_IdES3_S3_EEvlNS_24const_host_device_scalarIT5_EEPKT1_S9_PKT2_PKT3_PT4_21rocsparse_index_base_b.has_recursion, 0
	.set _ZN9rocsparseL19coomvn_atomic_loopsILj256ELj1El21rocsparse_complex_numIfES1_IdES3_S3_EEvlNS_24const_host_device_scalarIT5_EEPKT1_S9_PKT2_PKT3_PT4_21rocsparse_index_base_b.has_indirect_call, 0
	.section	.AMDGPU.csdata,"",@progbits
; Kernel info:
; codeLenInByte = 1520
; TotalNumSgprs: 22
; NumVgprs: 20
; ScratchSize: 0
; MemoryBound: 0
; FloatMode: 240
; IeeeMode: 1
; LDSByteSize: 6144 bytes/workgroup (compile time only)
; SGPRBlocks: 0
; VGPRBlocks: 1
; NumSGPRsForWavesPerEU: 22
; NumVGPRsForWavesPerEU: 20
; NamedBarCnt: 0
; Occupancy: 16
; WaveLimiterHint : 1
; COMPUTE_PGM_RSRC2:SCRATCH_EN: 0
; COMPUTE_PGM_RSRC2:USER_SGPR: 2
; COMPUTE_PGM_RSRC2:TRAP_HANDLER: 0
; COMPUTE_PGM_RSRC2:TGID_X_EN: 1
; COMPUTE_PGM_RSRC2:TGID_Y_EN: 0
; COMPUTE_PGM_RSRC2:TGID_Z_EN: 0
; COMPUTE_PGM_RSRC2:TIDIG_COMP_CNT: 0
	.section	.text._ZN9rocsparseL19coomvn_atomic_loopsILj256ELj2El21rocsparse_complex_numIfES1_IdES3_S3_EEvlNS_24const_host_device_scalarIT5_EEPKT1_S9_PKT2_PKT3_PT4_21rocsparse_index_base_b,"axG",@progbits,_ZN9rocsparseL19coomvn_atomic_loopsILj256ELj2El21rocsparse_complex_numIfES1_IdES3_S3_EEvlNS_24const_host_device_scalarIT5_EEPKT1_S9_PKT2_PKT3_PT4_21rocsparse_index_base_b,comdat
	.globl	_ZN9rocsparseL19coomvn_atomic_loopsILj256ELj2El21rocsparse_complex_numIfES1_IdES3_S3_EEvlNS_24const_host_device_scalarIT5_EEPKT1_S9_PKT2_PKT3_PT4_21rocsparse_index_base_b ; -- Begin function _ZN9rocsparseL19coomvn_atomic_loopsILj256ELj2El21rocsparse_complex_numIfES1_IdES3_S3_EEvlNS_24const_host_device_scalarIT5_EEPKT1_S9_PKT2_PKT3_PT4_21rocsparse_index_base_b
	.p2align	8
	.type	_ZN9rocsparseL19coomvn_atomic_loopsILj256ELj2El21rocsparse_complex_numIfES1_IdES3_S3_EEvlNS_24const_host_device_scalarIT5_EEPKT1_S9_PKT2_PKT3_PT4_21rocsparse_index_base_b,@function
_ZN9rocsparseL19coomvn_atomic_loopsILj256ELj2El21rocsparse_complex_numIfES1_IdES3_S3_EEvlNS_24const_host_device_scalarIT5_EEPKT1_S9_PKT2_PKT3_PT4_21rocsparse_index_base_b: ; @_ZN9rocsparseL19coomvn_atomic_loopsILj256ELj2El21rocsparse_complex_numIfES1_IdES3_S3_EEvlNS_24const_host_device_scalarIT5_EEPKT1_S9_PKT2_PKT3_PT4_21rocsparse_index_base_b
; %bb.0:
	s_clause 0x1
	s_load_b64 s[24:25], s[0:1], 0x40
	s_load_b128 s[20:23], s[0:1], 0x0
	v_mov_b32_e32 v11, 0
	s_or_b64 s[2:3], s[0:1], 8
	s_wait_kmcnt 0x0
	s_bitcmp1_b32 s25, 0
	s_cselect_b32 s3, s3, s23
	s_cselect_b32 s2, s2, s22
	flat_load_b128 v[2:5], v11, s[2:3]
	s_wait_loadcnt_dscnt 0x0
	v_cmp_neq_f64_e32 vcc_lo, 0, v[2:3]
	v_cmp_neq_f64_e64 s2, 0, v[4:5]
	s_or_b32 s2, vcc_lo, s2
	s_delay_alu instid0(SALU_CYCLE_1)
	s_and_saveexec_b32 s3, s2
	s_cbranch_execz .LBB107_92
; %bb.1:
	s_bfe_u32 s2, ttmp6, 0x4000c
	s_load_b256 s[12:19], s[0:1], 0x18
	s_add_co_i32 s2, s2, 1
	s_and_b32 s3, ttmp6, 15
	s_mul_i32 s2, ttmp9, s2
	s_getreg_b32 s4, hwreg(HW_REG_IB_STS2, 6, 4)
	s_add_co_i32 s3, s3, s2
	s_cmp_eq_u32 s4, 0
	v_mov_b64_e32 v[6:7], 0
	s_cselect_b32 s2, ttmp9, s3
	v_mov_b64_e32 v[14:15], -1
	v_lshl_or_b32 v10, s2, 9, v0
	s_mov_b32 s25, 0
	s_mov_b32 s2, exec_lo
	s_delay_alu instid0(VALU_DEP_3) | instskip(NEXT) | instid1(VALU_DEP_2)
	v_mov_b64_e32 v[8:9], v[6:7]
	v_lshlrev_b64_e32 v[12:13], 3, v[10:11]
	v_cmpx_gt_i64_e64 s[20:21], v[10:11]
	s_cbranch_execz .LBB107_3
; %bb.2:
	s_wait_kmcnt 0x0
	s_delay_alu instid0(VALU_DEP_2)
	v_add_nc_u64_e32 v[6:7], s[14:15], v[12:13]
	v_add_nc_u64_e32 v[8:9], s[16:17], v[12:13]
	global_load_b64 v[6:7], v[6:7], off th:TH_LOAD_NT
	global_load_b64 v[8:9], v[8:9], off th:TH_LOAD_NT
	s_wait_loadcnt 0x1
	s_wait_xcnt 0x1
	v_sub_nc_u64_e64 v[6:7], v[6:7], s[24:25]
	s_wait_loadcnt 0x0
	v_cvt_f64_f32_e32 v[20:21], v9
	v_cvt_f64_f32_e32 v[22:23], v8
	s_delay_alu instid0(VALU_DEP_3)
	v_lshl_add_u64 v[6:7], v[6:7], 4, s[18:19]
	global_load_b128 v[14:17], v[6:7], off
	s_wait_xcnt 0x0
	v_add_nc_u64_e32 v[6:7], s[12:13], v[12:13]
	global_load_b64 v[18:19], v[6:7], off th:TH_LOAD_NT
	s_wait_loadcnt 0x1
	s_wait_xcnt 0x0
	v_mul_f64_e64 v[6:7], v[16:17], -v[20:21]
	v_mul_f64_e32 v[8:9], v[16:17], v[22:23]
	s_delay_alu instid0(VALU_DEP_2) | instskip(NEXT) | instid1(VALU_DEP_2)
	v_fmac_f64_e32 v[6:7], v[22:23], v[14:15]
	v_fmac_f64_e32 v[8:9], v[20:21], v[14:15]
	s_wait_loadcnt 0x0
	v_sub_nc_u64_e64 v[14:15], v[18:19], s[24:25]
.LBB107_3:
	s_or_b32 exec_lo, exec_lo, s2
	v_dual_lshlrev_b32 v16, 3, v0 :: v_dual_lshlrev_b32 v22, 4, v0
	v_cmp_ne_u32_e64 s2, 0, v0
	v_cmp_eq_u32_e32 vcc_lo, 0, v0
	ds_store_b64 v16, v[14:15] offset:4096
	ds_store_b128 v22, v[6:9]
	v_or_b32_e32 v1, 0x1000, v16
	s_wait_dscnt 0x0
	s_barrier_signal -1
	s_barrier_wait -1
	s_delay_alu instid0(VALU_DEP_1)
	v_add_nc_u32_e32 v23, -8, v1
	s_and_saveexec_b32 s4, s2
	s_cbranch_execz .LBB107_7
; %bb.4:
	ds_load_b64 v[16:17], v23
	s_mov_b32 s5, exec_lo
	s_wait_dscnt 0x0
	v_cmpx_eq_u64_e64 v[14:15], v[16:17]
	s_cbranch_execz .LBB107_6
; %bb.5:
	v_add_nc_u32_e32 v16, -16, v22
	ds_load_b128 v[16:19], v16
	s_wait_dscnt 0x0
	v_add_f64_e32 v[6:7], v[6:7], v[16:17]
	v_add_f64_e32 v[8:9], v[8:9], v[18:19]
.LBB107_6:
	s_or_b32 exec_lo, exec_lo, s5
.LBB107_7:
	s_delay_alu instid0(SALU_CYCLE_1)
	s_or_b32 exec_lo, exec_lo, s4
	v_cmp_lt_u32_e64 s3, 1, v0
	v_add_nc_u32_e32 v24, -16, v1
	s_barrier_signal -1
	s_barrier_wait -1
	ds_store_b128 v22, v[6:9]
	s_wait_dscnt 0x0
	s_barrier_signal -1
	s_barrier_wait -1
	s_and_saveexec_b32 s5, s3
	s_cbranch_execz .LBB107_11
; %bb.8:
	ds_load_b64 v[16:17], v24
	s_mov_b32 s6, exec_lo
	s_wait_dscnt 0x0
	v_cmpx_eq_u64_e64 v[14:15], v[16:17]
	s_cbranch_execz .LBB107_10
; %bb.9:
	v_subrev_nc_u32_e32 v16, 32, v22
	ds_load_b128 v[16:19], v16
	s_wait_dscnt 0x0
	v_add_f64_e32 v[6:7], v[6:7], v[16:17]
	v_add_f64_e32 v[8:9], v[8:9], v[18:19]
.LBB107_10:
	s_or_b32 exec_lo, exec_lo, s6
.LBB107_11:
	s_delay_alu instid0(SALU_CYCLE_1)
	s_or_b32 exec_lo, exec_lo, s5
	v_cmp_lt_u32_e64 s4, 3, v0
	v_subrev_nc_u32_e32 v25, 32, v1
	s_barrier_signal -1
	s_barrier_wait -1
	ds_store_b128 v22, v[6:9]
	s_wait_dscnt 0x0
	s_barrier_signal -1
	s_barrier_wait -1
	s_and_saveexec_b32 s6, s4
	s_cbranch_execz .LBB107_15
; %bb.12:
	ds_load_b64 v[16:17], v25
	s_mov_b32 s7, exec_lo
	s_wait_dscnt 0x0
	v_cmpx_eq_u64_e64 v[14:15], v[16:17]
	s_cbranch_execz .LBB107_14
; %bb.13:
	v_subrev_nc_u32_e32 v16, 64, v22
	ds_load_b128 v[16:19], v16
	s_wait_dscnt 0x0
	v_add_f64_e32 v[6:7], v[6:7], v[16:17]
	v_add_f64_e32 v[8:9], v[8:9], v[18:19]
.LBB107_14:
	s_or_b32 exec_lo, exec_lo, s7
.LBB107_15:
	s_delay_alu instid0(SALU_CYCLE_1)
	s_or_b32 exec_lo, exec_lo, s6
	v_cmp_lt_u32_e64 s5, 7, v0
	v_subrev_nc_u32_e32 v26, 64, v1
	s_barrier_signal -1
	s_barrier_wait -1
	ds_store_b128 v22, v[6:9]
	s_wait_dscnt 0x0
	s_barrier_signal -1
	s_barrier_wait -1
	s_and_saveexec_b32 s7, s5
	s_cbranch_execz .LBB107_19
; %bb.16:
	ds_load_b64 v[16:17], v26
	s_mov_b32 s8, exec_lo
	s_wait_dscnt 0x0
	v_cmpx_eq_u64_e64 v[14:15], v[16:17]
	s_cbranch_execz .LBB107_18
; %bb.17:
	v_add_nc_u32_e32 v16, 0xffffff80, v22
	ds_load_b128 v[16:19], v16
	s_wait_dscnt 0x0
	v_add_f64_e32 v[6:7], v[6:7], v[16:17]
	v_add_f64_e32 v[8:9], v[8:9], v[18:19]
.LBB107_18:
	s_or_b32 exec_lo, exec_lo, s8
.LBB107_19:
	s_delay_alu instid0(SALU_CYCLE_1)
	s_or_b32 exec_lo, exec_lo, s7
	v_cmp_lt_u32_e64 s6, 15, v0
	v_add_nc_u32_e32 v27, 0xffffff80, v1
	s_barrier_signal -1
	s_barrier_wait -1
	ds_store_b128 v22, v[6:9]
	s_wait_dscnt 0x0
	s_barrier_signal -1
	s_barrier_wait -1
	s_and_saveexec_b32 s8, s6
	s_cbranch_execz .LBB107_23
; %bb.20:
	ds_load_b64 v[16:17], v27
	s_mov_b32 s9, exec_lo
	s_wait_dscnt 0x0
	v_cmpx_eq_u64_e64 v[14:15], v[16:17]
	s_cbranch_execz .LBB107_22
; %bb.21:
	v_add_nc_u32_e32 v16, 0xffffff00, v22
	ds_load_b128 v[16:19], v16
	s_wait_dscnt 0x0
	v_add_f64_e32 v[6:7], v[6:7], v[16:17]
	v_add_f64_e32 v[8:9], v[8:9], v[18:19]
.LBB107_22:
	s_or_b32 exec_lo, exec_lo, s9
.LBB107_23:
	s_delay_alu instid0(SALU_CYCLE_1)
	s_or_b32 exec_lo, exec_lo, s8
	v_cmp_lt_u32_e64 s7, 31, v0
	v_add_nc_u32_e32 v28, 0xffffff00, v1
	;; [unrolled: 27-line block ×4, first 2 shown]
	s_barrier_signal -1
	s_barrier_wait -1
	ds_store_b128 v22, v[6:9]
	s_wait_dscnt 0x0
	s_barrier_signal -1
	s_barrier_wait -1
	s_and_saveexec_b32 s11, s9
	s_cbranch_execz .LBB107_35
; %bb.32:
	ds_load_b64 v[16:17], v30
	s_mov_b32 s22, exec_lo
	s_wait_dscnt 0x0
	v_cmpx_eq_u64_e64 v[14:15], v[16:17]
	s_cbranch_execz .LBB107_34
; %bb.33:
	v_add_nc_u32_e32 v16, 0xfffff800, v22
	ds_load_b128 v[16:19], v16
	s_wait_dscnt 0x0
	v_add_f64_e32 v[6:7], v[6:7], v[16:17]
	v_add_f64_e32 v[8:9], v[8:9], v[18:19]
.LBB107_34:
	s_or_b32 exec_lo, exec_lo, s22
.LBB107_35:
	s_delay_alu instid0(SALU_CYCLE_1)
	s_or_b32 exec_lo, exec_lo, s11
	s_load_b64 s[22:23], s[0:1], 0x38
	s_wait_xcnt 0x0
	v_cmp_gt_u32_e64 s0, 0xff, v0
	s_barrier_signal -1
	s_barrier_wait -1
	ds_store_b128 v22, v[6:9]
	s_wait_dscnt 0x0
	s_barrier_signal -1
	s_barrier_wait -1
	s_and_saveexec_b32 s11, s0
	s_cbranch_execz .LBB107_38
; %bb.36:
	ds_load_b64 v[16:17], v1 offset:8
	v_cmp_lt_i64_e64 s10, -1, v[14:15]
	s_wait_dscnt 0x0
	v_cmp_ne_u64_e64 s1, v[14:15], v[16:17]
	s_and_b32 s1, s10, s1
	s_delay_alu instid0(SALU_CYCLE_1)
	s_and_b32 exec_lo, exec_lo, s1
	s_cbranch_execz .LBB107_38
; %bb.37:
	v_mul_f64_e64 v[16:17], v[8:9], -v[4:5]
	v_mul_f64_e32 v[8:9], v[2:3], v[8:9]
	s_delay_alu instid0(VALU_DEP_2) | instskip(NEXT) | instid1(VALU_DEP_2)
	v_fmac_f64_e32 v[16:17], v[2:3], v[6:7]
	v_fmac_f64_e32 v[8:9], v[4:5], v[6:7]
	s_wait_kmcnt 0x0
	v_lshl_add_u64 v[6:7], v[14:15], 4, s[22:23]
	global_atomic_add_f64 v[6:7], v[16:17], off scope:SCOPE_DEV
	s_wait_xcnt 0x0
	global_atomic_add_f64 v[6:7], v[8:9], off offset:8 scope:SCOPE_DEV
.LBB107_38:
	s_wait_xcnt 0x0
	s_or_b32 exec_lo, exec_lo, s11
	v_add_nc_u64_e32 v[8:9], 0x100, v[10:11]
	v_mov_b64_e32 v[14:15], -1
	v_mov_b64_e32 v[6:7], 0
	s_delay_alu instid0(VALU_DEP_3)
	v_cmp_gt_i64_e64 s1, s[20:21], v[8:9]
	v_mov_b64_e32 v[8:9], 0
	s_and_saveexec_b32 s10, s1
	s_cbranch_execz .LBB107_40
; %bb.39:
	s_wait_kmcnt 0x0
	v_add_nc_u64_e32 v[6:7], s[14:15], v[12:13]
	v_add_nc_u64_e32 v[8:9], s[16:17], v[12:13]
	global_load_b64 v[6:7], v[6:7], off offset:2048 th:TH_LOAD_NT
	global_load_b64 v[8:9], v[8:9], off offset:2048 th:TH_LOAD_NT
	s_wait_loadcnt 0x1
	s_wait_xcnt 0x1
	v_sub_nc_u64_e64 v[6:7], v[6:7], s[24:25]
	s_wait_loadcnt 0x0
	v_cvt_f64_f32_e32 v[18:19], v8
	s_delay_alu instid0(VALU_DEP_2)
	v_lshl_add_u64 v[6:7], v[6:7], 4, s[18:19]
	global_load_b128 v[14:17], v[6:7], off
	s_wait_xcnt 0x0
	v_add_nc_u64_e32 v[6:7], s[12:13], v[12:13]
	v_cvt_f64_f32_e32 v[12:13], v9
	global_load_b64 v[10:11], v[6:7], off offset:2048 th:TH_LOAD_NT
	s_wait_loadcnt 0x1
	s_wait_xcnt 0x0
	v_mul_f64_e64 v[6:7], v[16:17], -v[12:13]
	v_mul_f64_e32 v[8:9], v[16:17], v[18:19]
	s_delay_alu instid0(VALU_DEP_2) | instskip(NEXT) | instid1(VALU_DEP_2)
	v_fmac_f64_e32 v[6:7], v[18:19], v[14:15]
	v_fmac_f64_e32 v[8:9], v[12:13], v[14:15]
	s_wait_loadcnt 0x0
	v_sub_nc_u64_e64 v[14:15], v[10:11], s[24:25]
.LBB107_40:
	s_or_b32 exec_lo, exec_lo, s10
	s_and_saveexec_b32 s1, vcc_lo
	s_cbranch_execz .LBB107_55
; %bb.41:
	v_mov_b32_e32 v10, 0
	s_mov_b32 s10, exec_lo
	ds_load_b64 v[16:17], v10 offset:6136
	s_wait_dscnt 0x0
	v_cmpx_ne_u64_e64 v[14:15], v[16:17]
	s_xor_b32 s10, exec_lo, s10
	s_cbranch_execz .LBB107_52
; %bb.42:
	v_cmp_gt_i64_e32 vcc_lo, 0, v[16:17]
	s_cbranch_vccnz .LBB107_52
; %bb.43:
	v_mov_b32_e32 v10, 0
	v_mov_b64_e32 v[18:19], 0x8000000000000000
	s_mov_b32 s11, exec_lo
	ds_load_b128 v[10:13], v10 offset:4080
	s_wait_dscnt 0x0
	v_mul_f64_e64 v[20:21], v[12:13], -v[4:5]
	s_delay_alu instid0(VALU_DEP_1)
	v_fmac_f64_e32 v[20:21], v[2:3], v[10:11]
.LBB107_44:                             ; =>This Inner Loop Header: Depth=1
	s_wait_kmcnt 0x0
	s_ctz_i32_b32 s14, s11
	s_delay_alu instid0(VALU_DEP_1) | instid1(SALU_CYCLE_1)
	v_readlane_b32 s13, v21, s14
	s_delay_alu instid0(VALU_DEP_2) | instskip(NEXT) | instid1(VALU_DEP_1)
	v_readlane_b32 s12, v20, s14
	v_add_f64_e32 v[18:19], s[12:13], v[18:19]
	s_lshl_b32 s12, 1, s14
	s_delay_alu instid0(SALU_CYCLE_1) | instskip(NEXT) | instid1(SALU_CYCLE_1)
	s_and_not1_b32 s11, s11, s12
	s_cmp_lg_u32 s11, 0
	s_cbranch_scc1 .LBB107_44
; %bb.45:
	v_lshlrev_b64_e32 v[16:17], 4, v[16:17]
	v_mbcnt_lo_u32_b32 v20, exec_lo, 0
	s_mov_b32 s11, exec_lo
	s_delay_alu instid0(VALU_DEP_2) | instskip(NEXT) | instid1(VALU_DEP_2)
	v_add_nc_u64_e32 v[16:17], s[22:23], v[16:17]
	v_cmpx_eq_u32_e32 0, v20
	s_xor_b32 s11, exec_lo, s11
	s_cbranch_execz .LBB107_47
; %bb.46:
	global_atomic_add_f64 v[16:17], v[18:19], off scope:SCOPE_DEV
.LBB107_47:
	s_wait_xcnt 0x0
	s_or_b32 exec_lo, exec_lo, s11
	v_mul_f64_e32 v[12:13], v[2:3], v[12:13]
	s_mov_b32 s11, exec_lo
	s_delay_alu instid0(VALU_DEP_1)
	v_fmac_f64_e32 v[12:13], v[4:5], v[10:11]
	v_mov_b64_e32 v[10:11], 0x8000000000000000
.LBB107_48:                             ; =>This Inner Loop Header: Depth=1
	s_ctz_i32_b32 s14, s11
	s_delay_alu instid0(VALU_DEP_2) | instid1(SALU_CYCLE_1)
	v_readlane_b32 s13, v13, s14
	s_delay_alu instid0(VALU_DEP_3) | instskip(NEXT) | instid1(VALU_DEP_1)
	v_readlane_b32 s12, v12, s14
	v_add_f64_e32 v[10:11], s[12:13], v[10:11]
	s_lshl_b32 s12, 1, s14
	s_delay_alu instid0(SALU_CYCLE_1) | instskip(NEXT) | instid1(SALU_CYCLE_1)
	s_and_not1_b32 s11, s11, s12
	s_cmp_lg_u32 s11, 0
	s_cbranch_scc1 .LBB107_48
; %bb.49:
	v_mbcnt_lo_u32_b32 v12, exec_lo, 0
	s_mov_b32 s11, exec_lo
	s_delay_alu instid0(VALU_DEP_1)
	v_cmpx_eq_u32_e32 0, v12
	s_xor_b32 s11, exec_lo, s11
	s_cbranch_execz .LBB107_51
; %bb.50:
	global_atomic_add_f64 v[16:17], v[10:11], off offset:8 scope:SCOPE_DEV
.LBB107_51:
	s_wait_xcnt 0x0
	s_or_b32 exec_lo, exec_lo, s11
.LBB107_52:
	s_and_not1_saveexec_b32 s10, s10
	s_cbranch_execz .LBB107_54
; %bb.53:
	v_mov_b32_e32 v10, 0
	ds_load_b128 v[10:13], v10 offset:4080
	s_wait_dscnt 0x0
	v_add_f64_e32 v[6:7], v[6:7], v[10:11]
	v_add_f64_e32 v[8:9], v[8:9], v[12:13]
.LBB107_54:
	s_or_b32 exec_lo, exec_lo, s10
.LBB107_55:
	s_delay_alu instid0(SALU_CYCLE_1)
	s_or_b32 exec_lo, exec_lo, s1
	s_wait_storecnt 0x0
	s_barrier_signal -1
	s_barrier_wait -1
	ds_store_b64 v1, v[14:15]
	ds_store_b128 v22, v[6:9]
	s_wait_dscnt 0x0
	s_barrier_signal -1
	s_barrier_wait -1
	s_and_saveexec_b32 s1, s2
	s_cbranch_execz .LBB107_59
; %bb.56:
	ds_load_b64 v[10:11], v23
	s_mov_b32 s2, exec_lo
	s_wait_dscnt 0x0
	v_cmpx_eq_u64_e64 v[14:15], v[10:11]
	s_cbranch_execz .LBB107_58
; %bb.57:
	v_add_nc_u32_e32 v10, -16, v22
	ds_load_b128 v[10:13], v10
	s_wait_dscnt 0x0
	v_add_f64_e32 v[6:7], v[6:7], v[10:11]
	v_add_f64_e32 v[8:9], v[8:9], v[12:13]
.LBB107_58:
	s_or_b32 exec_lo, exec_lo, s2
.LBB107_59:
	s_delay_alu instid0(SALU_CYCLE_1)
	s_or_b32 exec_lo, exec_lo, s1
	s_barrier_signal -1
	s_barrier_wait -1
	ds_store_b128 v22, v[6:9]
	s_wait_dscnt 0x0
	s_barrier_signal -1
	s_barrier_wait -1
	s_and_saveexec_b32 s1, s3
	s_cbranch_execz .LBB107_63
; %bb.60:
	ds_load_b64 v[10:11], v24
	s_mov_b32 s2, exec_lo
	s_wait_dscnt 0x0
	v_cmpx_eq_u64_e64 v[14:15], v[10:11]
	s_cbranch_execz .LBB107_62
; %bb.61:
	v_subrev_nc_u32_e32 v10, 32, v22
	ds_load_b128 v[10:13], v10
	s_wait_dscnt 0x0
	v_add_f64_e32 v[6:7], v[6:7], v[10:11]
	v_add_f64_e32 v[8:9], v[8:9], v[12:13]
.LBB107_62:
	s_or_b32 exec_lo, exec_lo, s2
.LBB107_63:
	s_delay_alu instid0(SALU_CYCLE_1)
	s_or_b32 exec_lo, exec_lo, s1
	s_barrier_signal -1
	s_barrier_wait -1
	ds_store_b128 v22, v[6:9]
	s_wait_dscnt 0x0
	s_barrier_signal -1
	s_barrier_wait -1
	s_and_saveexec_b32 s1, s4
	s_cbranch_execz .LBB107_67
; %bb.64:
	ds_load_b64 v[10:11], v25
	s_mov_b32 s2, exec_lo
	s_wait_dscnt 0x0
	v_cmpx_eq_u64_e64 v[14:15], v[10:11]
	s_cbranch_execz .LBB107_66
; %bb.65:
	v_subrev_nc_u32_e32 v10, 64, v22
	ds_load_b128 v[10:13], v10
	s_wait_dscnt 0x0
	v_add_f64_e32 v[6:7], v[6:7], v[10:11]
	v_add_f64_e32 v[8:9], v[8:9], v[12:13]
.LBB107_66:
	s_or_b32 exec_lo, exec_lo, s2
.LBB107_67:
	s_delay_alu instid0(SALU_CYCLE_1)
	s_or_b32 exec_lo, exec_lo, s1
	s_barrier_signal -1
	s_barrier_wait -1
	ds_store_b128 v22, v[6:9]
	s_wait_dscnt 0x0
	s_barrier_signal -1
	s_barrier_wait -1
	s_and_saveexec_b32 s1, s5
	s_cbranch_execz .LBB107_71
; %bb.68:
	ds_load_b64 v[10:11], v26
	s_mov_b32 s2, exec_lo
	s_wait_dscnt 0x0
	v_cmpx_eq_u64_e64 v[14:15], v[10:11]
	s_cbranch_execz .LBB107_70
; %bb.69:
	v_add_nc_u32_e32 v10, 0xffffff80, v22
	ds_load_b128 v[10:13], v10
	s_wait_dscnt 0x0
	v_add_f64_e32 v[6:7], v[6:7], v[10:11]
	v_add_f64_e32 v[8:9], v[8:9], v[12:13]
.LBB107_70:
	s_or_b32 exec_lo, exec_lo, s2
.LBB107_71:
	s_delay_alu instid0(SALU_CYCLE_1)
	s_or_b32 exec_lo, exec_lo, s1
	s_barrier_signal -1
	s_barrier_wait -1
	ds_store_b128 v22, v[6:9]
	s_wait_dscnt 0x0
	s_barrier_signal -1
	s_barrier_wait -1
	s_and_saveexec_b32 s1, s6
	s_cbranch_execz .LBB107_75
; %bb.72:
	ds_load_b64 v[10:11], v27
	s_mov_b32 s2, exec_lo
	s_wait_dscnt 0x0
	v_cmpx_eq_u64_e64 v[14:15], v[10:11]
	s_cbranch_execz .LBB107_74
; %bb.73:
	v_add_nc_u32_e32 v10, 0xffffff00, v22
	ds_load_b128 v[10:13], v10
	s_wait_dscnt 0x0
	v_add_f64_e32 v[6:7], v[6:7], v[10:11]
	v_add_f64_e32 v[8:9], v[8:9], v[12:13]
.LBB107_74:
	s_or_b32 exec_lo, exec_lo, s2
.LBB107_75:
	;; [unrolled: 25-line block ×5, first 2 shown]
	s_delay_alu instid0(SALU_CYCLE_1)
	s_or_b32 exec_lo, exec_lo, s1
	s_barrier_signal -1
	s_barrier_wait -1
	ds_store_b128 v22, v[6:9]
	s_wait_dscnt 0x0
	s_barrier_signal -1
	s_barrier_wait -1
	s_and_saveexec_b32 s1, s0
	s_cbranch_execz .LBB107_90
; %bb.88:
	ds_load_b64 v[10:11], v1 offset:8
	v_cmp_lt_i64_e64 s0, -1, v[14:15]
	s_wait_dscnt 0x0
	v_cmp_ne_u64_e32 vcc_lo, v[14:15], v[10:11]
	s_and_b32 s0, s0, vcc_lo
	s_delay_alu instid0(SALU_CYCLE_1)
	s_and_b32 exec_lo, exec_lo, s0
	s_cbranch_execz .LBB107_90
; %bb.89:
	v_mul_f64_e64 v[10:11], v[8:9], -v[4:5]
	v_mul_f64_e32 v[12:13], v[2:3], v[8:9]
	s_wait_kmcnt 0x0
	v_lshl_add_u64 v[16:17], v[14:15], 4, s[22:23]
	s_delay_alu instid0(VALU_DEP_3) | instskip(NEXT) | instid1(VALU_DEP_3)
	v_fmac_f64_e32 v[10:11], v[2:3], v[6:7]
	v_fmac_f64_e32 v[12:13], v[4:5], v[6:7]
	global_atomic_add_f64 v[16:17], v[10:11], off scope:SCOPE_DEV
	s_wait_xcnt 0x0
	global_atomic_add_f64 v[16:17], v[12:13], off offset:8 scope:SCOPE_DEV
.LBB107_90:
	s_wait_xcnt 0x0
	s_or_b32 exec_lo, exec_lo, s1
	v_cmp_lt_i64_e32 vcc_lo, -1, v[14:15]
	v_cmp_eq_u32_e64 s0, 0xff, v0
	s_and_b32 s0, s0, vcc_lo
	s_delay_alu instid0(SALU_CYCLE_1)
	s_and_b32 exec_lo, exec_lo, s0
	s_cbranch_execz .LBB107_92
; %bb.91:
	v_mul_f64_e64 v[0:1], v[8:9], -v[4:5]
	v_mul_f64_e32 v[8:9], v[2:3], v[8:9]
	s_delay_alu instid0(VALU_DEP_2) | instskip(NEXT) | instid1(VALU_DEP_2)
	v_fmac_f64_e32 v[0:1], v[2:3], v[6:7]
	v_fmac_f64_e32 v[8:9], v[4:5], v[6:7]
	s_wait_kmcnt 0x0
	v_lshl_add_u64 v[2:3], v[14:15], 4, s[22:23]
	global_atomic_add_f64 v[2:3], v[0:1], off scope:SCOPE_DEV
	s_wait_xcnt 0x0
	global_atomic_add_f64 v[2:3], v[8:9], off offset:8 scope:SCOPE_DEV
.LBB107_92:
	s_endpgm
	.section	.rodata,"a",@progbits
	.p2align	6, 0x0
	.amdhsa_kernel _ZN9rocsparseL19coomvn_atomic_loopsILj256ELj2El21rocsparse_complex_numIfES1_IdES3_S3_EEvlNS_24const_host_device_scalarIT5_EEPKT1_S9_PKT2_PKT3_PT4_21rocsparse_index_base_b
		.amdhsa_group_segment_fixed_size 6144
		.amdhsa_private_segment_fixed_size 0
		.amdhsa_kernarg_size 72
		.amdhsa_user_sgpr_count 2
		.amdhsa_user_sgpr_dispatch_ptr 0
		.amdhsa_user_sgpr_queue_ptr 0
		.amdhsa_user_sgpr_kernarg_segment_ptr 1
		.amdhsa_user_sgpr_dispatch_id 0
		.amdhsa_user_sgpr_kernarg_preload_length 0
		.amdhsa_user_sgpr_kernarg_preload_offset 0
		.amdhsa_user_sgpr_private_segment_size 0
		.amdhsa_wavefront_size32 1
		.amdhsa_uses_dynamic_stack 0
		.amdhsa_enable_private_segment 0
		.amdhsa_system_sgpr_workgroup_id_x 1
		.amdhsa_system_sgpr_workgroup_id_y 0
		.amdhsa_system_sgpr_workgroup_id_z 0
		.amdhsa_system_sgpr_workgroup_info 0
		.amdhsa_system_vgpr_workitem_id 0
		.amdhsa_next_free_vgpr 31
		.amdhsa_next_free_sgpr 26
		.amdhsa_named_barrier_count 0
		.amdhsa_reserve_vcc 1
		.amdhsa_float_round_mode_32 0
		.amdhsa_float_round_mode_16_64 0
		.amdhsa_float_denorm_mode_32 3
		.amdhsa_float_denorm_mode_16_64 3
		.amdhsa_fp16_overflow 0
		.amdhsa_memory_ordered 1
		.amdhsa_forward_progress 1
		.amdhsa_inst_pref_size 25
		.amdhsa_round_robin_scheduling 0
		.amdhsa_exception_fp_ieee_invalid_op 0
		.amdhsa_exception_fp_denorm_src 0
		.amdhsa_exception_fp_ieee_div_zero 0
		.amdhsa_exception_fp_ieee_overflow 0
		.amdhsa_exception_fp_ieee_underflow 0
		.amdhsa_exception_fp_ieee_inexact 0
		.amdhsa_exception_int_div_zero 0
	.end_amdhsa_kernel
	.section	.text._ZN9rocsparseL19coomvn_atomic_loopsILj256ELj2El21rocsparse_complex_numIfES1_IdES3_S3_EEvlNS_24const_host_device_scalarIT5_EEPKT1_S9_PKT2_PKT3_PT4_21rocsparse_index_base_b,"axG",@progbits,_ZN9rocsparseL19coomvn_atomic_loopsILj256ELj2El21rocsparse_complex_numIfES1_IdES3_S3_EEvlNS_24const_host_device_scalarIT5_EEPKT1_S9_PKT2_PKT3_PT4_21rocsparse_index_base_b,comdat
.Lfunc_end107:
	.size	_ZN9rocsparseL19coomvn_atomic_loopsILj256ELj2El21rocsparse_complex_numIfES1_IdES3_S3_EEvlNS_24const_host_device_scalarIT5_EEPKT1_S9_PKT2_PKT3_PT4_21rocsparse_index_base_b, .Lfunc_end107-_ZN9rocsparseL19coomvn_atomic_loopsILj256ELj2El21rocsparse_complex_numIfES1_IdES3_S3_EEvlNS_24const_host_device_scalarIT5_EEPKT1_S9_PKT2_PKT3_PT4_21rocsparse_index_base_b
                                        ; -- End function
	.set _ZN9rocsparseL19coomvn_atomic_loopsILj256ELj2El21rocsparse_complex_numIfES1_IdES3_S3_EEvlNS_24const_host_device_scalarIT5_EEPKT1_S9_PKT2_PKT3_PT4_21rocsparse_index_base_b.num_vgpr, 31
	.set _ZN9rocsparseL19coomvn_atomic_loopsILj256ELj2El21rocsparse_complex_numIfES1_IdES3_S3_EEvlNS_24const_host_device_scalarIT5_EEPKT1_S9_PKT2_PKT3_PT4_21rocsparse_index_base_b.num_agpr, 0
	.set _ZN9rocsparseL19coomvn_atomic_loopsILj256ELj2El21rocsparse_complex_numIfES1_IdES3_S3_EEvlNS_24const_host_device_scalarIT5_EEPKT1_S9_PKT2_PKT3_PT4_21rocsparse_index_base_b.numbered_sgpr, 26
	.set _ZN9rocsparseL19coomvn_atomic_loopsILj256ELj2El21rocsparse_complex_numIfES1_IdES3_S3_EEvlNS_24const_host_device_scalarIT5_EEPKT1_S9_PKT2_PKT3_PT4_21rocsparse_index_base_b.num_named_barrier, 0
	.set _ZN9rocsparseL19coomvn_atomic_loopsILj256ELj2El21rocsparse_complex_numIfES1_IdES3_S3_EEvlNS_24const_host_device_scalarIT5_EEPKT1_S9_PKT2_PKT3_PT4_21rocsparse_index_base_b.private_seg_size, 0
	.set _ZN9rocsparseL19coomvn_atomic_loopsILj256ELj2El21rocsparse_complex_numIfES1_IdES3_S3_EEvlNS_24const_host_device_scalarIT5_EEPKT1_S9_PKT2_PKT3_PT4_21rocsparse_index_base_b.uses_vcc, 1
	.set _ZN9rocsparseL19coomvn_atomic_loopsILj256ELj2El21rocsparse_complex_numIfES1_IdES3_S3_EEvlNS_24const_host_device_scalarIT5_EEPKT1_S9_PKT2_PKT3_PT4_21rocsparse_index_base_b.uses_flat_scratch, 0
	.set _ZN9rocsparseL19coomvn_atomic_loopsILj256ELj2El21rocsparse_complex_numIfES1_IdES3_S3_EEvlNS_24const_host_device_scalarIT5_EEPKT1_S9_PKT2_PKT3_PT4_21rocsparse_index_base_b.has_dyn_sized_stack, 0
	.set _ZN9rocsparseL19coomvn_atomic_loopsILj256ELj2El21rocsparse_complex_numIfES1_IdES3_S3_EEvlNS_24const_host_device_scalarIT5_EEPKT1_S9_PKT2_PKT3_PT4_21rocsparse_index_base_b.has_recursion, 0
	.set _ZN9rocsparseL19coomvn_atomic_loopsILj256ELj2El21rocsparse_complex_numIfES1_IdES3_S3_EEvlNS_24const_host_device_scalarIT5_EEPKT1_S9_PKT2_PKT3_PT4_21rocsparse_index_base_b.has_indirect_call, 0
	.section	.AMDGPU.csdata,"",@progbits
; Kernel info:
; codeLenInByte = 3140
; TotalNumSgprs: 28
; NumVgprs: 31
; ScratchSize: 0
; MemoryBound: 0
; FloatMode: 240
; IeeeMode: 1
; LDSByteSize: 6144 bytes/workgroup (compile time only)
; SGPRBlocks: 0
; VGPRBlocks: 1
; NumSGPRsForWavesPerEU: 28
; NumVGPRsForWavesPerEU: 31
; NamedBarCnt: 0
; Occupancy: 16
; WaveLimiterHint : 1
; COMPUTE_PGM_RSRC2:SCRATCH_EN: 0
; COMPUTE_PGM_RSRC2:USER_SGPR: 2
; COMPUTE_PGM_RSRC2:TRAP_HANDLER: 0
; COMPUTE_PGM_RSRC2:TGID_X_EN: 1
; COMPUTE_PGM_RSRC2:TGID_Y_EN: 0
; COMPUTE_PGM_RSRC2:TGID_Z_EN: 0
; COMPUTE_PGM_RSRC2:TIDIG_COMP_CNT: 0
	.section	.AMDGPU.gpr_maximums,"",@progbits
	.set amdgpu.max_num_vgpr, 0
	.set amdgpu.max_num_agpr, 0
	.set amdgpu.max_num_sgpr, 0
	.section	.AMDGPU.csdata,"",@progbits
	.type	__hip_cuid_6713883cab33e7a7,@object ; @__hip_cuid_6713883cab33e7a7
	.section	.bss,"aw",@nobits
	.globl	__hip_cuid_6713883cab33e7a7
__hip_cuid_6713883cab33e7a7:
	.byte	0                               ; 0x0
	.size	__hip_cuid_6713883cab33e7a7, 1

	.ident	"AMD clang version 22.0.0git (https://github.com/RadeonOpenCompute/llvm-project roc-7.2.4 26084 f58b06dce1f9c15707c5f808fd002e18c2accf7e)"
	.section	".note.GNU-stack","",@progbits
	.addrsig
	.addrsig_sym __hip_cuid_6713883cab33e7a7
	.amdgpu_metadata
---
amdhsa.kernels:
  - .args:
      - .offset:         0
        .size:           4
        .value_kind:     by_value
      - .actual_access:  read_only
        .address_space:  global
        .offset:         8
        .size:           8
        .value_kind:     global_buffer
      - .address_space:  global
        .offset:         16
        .size:           8
        .value_kind:     global_buffer
    .group_segment_fixed_size: 1024
    .kernarg_segment_align: 8
    .kernarg_segment_size: 24
    .language:       OpenCL C
    .language_version:
      - 2
      - 0
    .max_flat_workgroup_size: 256
    .name:           _ZN9rocsparseL19csr_max_nnz_per_rowILj256EiiEEvT1_PKT0_PS1_
    .private_segment_fixed_size: 0
    .sgpr_count:     8
    .sgpr_spill_count: 0
    .symbol:         _ZN9rocsparseL19csr_max_nnz_per_rowILj256EiiEEvT1_PKT0_PS1_.kd
    .uniform_work_group_size: 1
    .uses_dynamic_stack: false
    .vgpr_count:     4
    .vgpr_spill_count: 0
    .wavefront_size: 32
  - .args:
      - .offset:         0
        .size:           8
        .value_kind:     by_value
      - .actual_access:  read_only
        .address_space:  global
        .offset:         8
        .size:           8
        .value_kind:     global_buffer
      - .address_space:  global
        .offset:         16
        .size:           8
        .value_kind:     global_buffer
    .group_segment_fixed_size: 2048
    .kernarg_segment_align: 8
    .kernarg_segment_size: 24
    .language:       OpenCL C
    .language_version:
      - 2
      - 0
    .max_flat_workgroup_size: 256
    .name:           _ZN9rocsparseL19csr_max_nnz_per_rowILj256EllEEvT1_PKT0_PS1_
    .private_segment_fixed_size: 0
    .sgpr_count:     9
    .sgpr_spill_count: 0
    .symbol:         _ZN9rocsparseL19csr_max_nnz_per_rowILj256EllEEvT1_PKT0_PS1_.kd
    .uniform_work_group_size: 1
    .uses_dynamic_stack: false
    .vgpr_count:     6
    .vgpr_spill_count: 0
    .wavefront_size: 32
  - .args:
      - .offset:         0
        .size:           8
        .value_kind:     by_value
      - .offset:         8
        .size:           4
        .value_kind:     by_value
      - .offset:         16
        .size:           8
        .value_kind:     by_value
      - .actual_access:  read_only
        .address_space:  global
        .offset:         24
        .size:           8
        .value_kind:     global_buffer
      - .actual_access:  read_only
        .address_space:  global
        .offset:         32
        .size:           8
        .value_kind:     global_buffer
      - .actual_access:  read_only
        .address_space:  global
        .offset:         40
        .size:           8
        .value_kind:     global_buffer
      - .actual_access:  read_only
        .address_space:  global
        .offset:         48
        .size:           8
        .value_kind:     global_buffer
      - .address_space:  global
        .offset:         56
        .size:           8
        .value_kind:     global_buffer
      - .actual_access:  write_only
        .address_space:  global
        .offset:         64
        .size:           8
        .value_kind:     global_buffer
      - .actual_access:  write_only
        .address_space:  global
        .offset:         72
        .size:           8
        .value_kind:     global_buffer
      - .offset:         80
        .size:           4
        .value_kind:     by_value
      - .offset:         84
        .size:           1
        .value_kind:     by_value
    .group_segment_fixed_size: 2048
    .kernarg_segment_align: 8
    .kernarg_segment_size: 88
    .language:       OpenCL C
    .language_version:
      - 2
      - 0
    .max_flat_workgroup_size: 256
    .name:           _ZN9rocsparseL22coomvn_segmented_loopsILj256EiffffEEvlT0_NS_24const_host_device_scalarIT4_EEPKS1_S6_PKT1_PKT2_PT3_PS1_PS3_21rocsparse_index_base_b
    .private_segment_fixed_size: 0
    .sgpr_count:     38
    .sgpr_spill_count: 0
    .symbol:         _ZN9rocsparseL22coomvn_segmented_loopsILj256EiffffEEvlT0_NS_24const_host_device_scalarIT4_EEPKS1_S6_PKT1_PKT2_PT3_PS1_PS3_21rocsparse_index_base_b.kd
    .uniform_work_group_size: 1
    .uses_dynamic_stack: false
    .vgpr_count:     33
    .vgpr_spill_count: 0
    .wavefront_size: 32
  - .args:
      - .offset:         0
        .size:           4
        .value_kind:     by_value
      - .offset:         8
        .size:           8
        .value_kind:     by_value
      - .actual_access:  read_only
        .address_space:  global
        .offset:         16
        .size:           8
        .value_kind:     global_buffer
      - .actual_access:  read_only
        .address_space:  global
        .offset:         24
        .size:           8
        .value_kind:     global_buffer
      - .address_space:  global
        .offset:         32
        .size:           8
        .value_kind:     global_buffer
      - .offset:         40
        .size:           1
        .value_kind:     by_value
    .group_segment_fixed_size: 2048
    .kernarg_segment_align: 8
    .kernarg_segment_size: 44
    .language:       OpenCL C
    .language_version:
      - 2
      - 0
    .max_flat_workgroup_size: 256
    .name:           _ZN9rocsparseL29coomvn_segmented_loops_reduceILj256EiffEEvT0_NS_24const_host_device_scalarIT2_EEPKS1_PKS3_PT1_b
    .private_segment_fixed_size: 0
    .sgpr_count:     21
    .sgpr_spill_count: 0
    .symbol:         _ZN9rocsparseL29coomvn_segmented_loops_reduceILj256EiffEEvT0_NS_24const_host_device_scalarIT2_EEPKS1_PKS3_PT1_b.kd
    .uniform_work_group_size: 1
    .uses_dynamic_stack: false
    .vgpr_count:     23
    .vgpr_spill_count: 0
    .wavefront_size: 32
  - .args:
      - .offset:         0
        .size:           4
        .value_kind:     by_value
      - .offset:         8
        .size:           8
        .value_kind:     by_value
      - .offset:         16
        .size:           8
        .value_kind:     by_value
      - .actual_access:  read_only
        .address_space:  global
        .offset:         24
        .size:           8
        .value_kind:     global_buffer
      - .actual_access:  read_only
        .address_space:  global
        .offset:         32
        .size:           8
        .value_kind:     global_buffer
      - .actual_access:  read_only
        .address_space:  global
        .offset:         40
        .size:           8
        .value_kind:     global_buffer
      - .actual_access:  read_only
        .address_space:  global
        .offset:         48
        .size:           8
        .value_kind:     global_buffer
      - .address_space:  global
        .offset:         56
        .size:           8
        .value_kind:     global_buffer
      - .offset:         64
        .size:           4
        .value_kind:     by_value
      - .offset:         68
        .size:           1
        .value_kind:     by_value
      - .offset:         72
        .size:           4
        .value_kind:     hidden_block_count_x
      - .offset:         76
        .size:           4
        .value_kind:     hidden_block_count_y
      - .offset:         80
        .size:           4
        .value_kind:     hidden_block_count_z
      - .offset:         84
        .size:           2
        .value_kind:     hidden_group_size_x
      - .offset:         86
        .size:           2
        .value_kind:     hidden_group_size_y
      - .offset:         88
        .size:           2
        .value_kind:     hidden_group_size_z
      - .offset:         90
        .size:           2
        .value_kind:     hidden_remainder_x
      - .offset:         92
        .size:           2
        .value_kind:     hidden_remainder_y
      - .offset:         94
        .size:           2
        .value_kind:     hidden_remainder_z
      - .offset:         112
        .size:           8
        .value_kind:     hidden_global_offset_x
      - .offset:         120
        .size:           8
        .value_kind:     hidden_global_offset_y
      - .offset:         128
        .size:           8
        .value_kind:     hidden_global_offset_z
      - .offset:         136
        .size:           2
        .value_kind:     hidden_grid_dims
    .group_segment_fixed_size: 0
    .kernarg_segment_align: 8
    .kernarg_segment_size: 328
    .language:       OpenCL C
    .language_version:
      - 2
      - 0
    .max_flat_workgroup_size: 1024
    .name:           _ZN9rocsparseL13coomvt_kernelILj1024EiffffEEv20rocsparse_operation_lNS_24const_host_device_scalarIT4_EEPKT0_S7_PKT1_PKT2_PT3_21rocsparse_index_base_b
    .private_segment_fixed_size: 0
    .sgpr_count:     18
    .sgpr_spill_count: 0
    .symbol:         _ZN9rocsparseL13coomvt_kernelILj1024EiffffEEv20rocsparse_operation_lNS_24const_host_device_scalarIT4_EEPKT0_S7_PKT1_PKT2_PT3_21rocsparse_index_base_b.kd
    .uniform_work_group_size: 1
    .uses_dynamic_stack: false
    .vgpr_count:     8
    .vgpr_spill_count: 0
    .wavefront_size: 32
  - .args:
      - .offset:         0
        .size:           8
        .value_kind:     by_value
      - .offset:         8
        .size:           8
        .value_kind:     by_value
      - .actual_access:  read_only
        .address_space:  global
        .offset:         16
        .size:           8
        .value_kind:     global_buffer
      - .actual_access:  read_only
        .address_space:  global
        .offset:         24
        .size:           8
        .value_kind:     global_buffer
      - .actual_access:  read_only
        .address_space:  global
        .offset:         32
        .size:           8
        .value_kind:     global_buffer
      - .actual_access:  read_only
        .address_space:  global
        .offset:         40
        .size:           8
        .value_kind:     global_buffer
      - .address_space:  global
        .offset:         48
        .size:           8
        .value_kind:     global_buffer
      - .offset:         56
        .size:           4
        .value_kind:     by_value
      - .offset:         60
        .size:           1
        .value_kind:     by_value
    .group_segment_fixed_size: 2048
    .kernarg_segment_align: 8
    .kernarg_segment_size: 64
    .language:       OpenCL C
    .language_version:
      - 2
      - 0
    .max_flat_workgroup_size: 256
    .name:           _ZN9rocsparseL19coomvn_atomic_loopsILj256ELj1EiffffEEvlNS_24const_host_device_scalarIT5_EEPKT1_S6_PKT2_PKT3_PT4_21rocsparse_index_base_b
    .private_segment_fixed_size: 0
    .sgpr_count:     18
    .sgpr_spill_count: 0
    .symbol:         _ZN9rocsparseL19coomvn_atomic_loopsILj256ELj1EiffffEEvlNS_24const_host_device_scalarIT5_EEPKT1_S6_PKT2_PKT3_PT4_21rocsparse_index_base_b.kd
    .uniform_work_group_size: 1
    .uses_dynamic_stack: false
    .vgpr_count:     9
    .vgpr_spill_count: 0
    .wavefront_size: 32
  - .args:
      - .offset:         0
        .size:           8
        .value_kind:     by_value
      - .offset:         8
        .size:           8
        .value_kind:     by_value
      - .actual_access:  read_only
        .address_space:  global
        .offset:         16
        .size:           8
        .value_kind:     global_buffer
      - .actual_access:  read_only
        .address_space:  global
        .offset:         24
        .size:           8
        .value_kind:     global_buffer
      - .actual_access:  read_only
        .address_space:  global
        .offset:         32
        .size:           8
        .value_kind:     global_buffer
      - .actual_access:  read_only
        .address_space:  global
        .offset:         40
        .size:           8
        .value_kind:     global_buffer
      - .address_space:  global
        .offset:         48
        .size:           8
        .value_kind:     global_buffer
      - .offset:         56
        .size:           4
        .value_kind:     by_value
      - .offset:         60
        .size:           1
        .value_kind:     by_value
    .group_segment_fixed_size: 2048
    .kernarg_segment_align: 8
    .kernarg_segment_size: 64
    .language:       OpenCL C
    .language_version:
      - 2
      - 0
    .max_flat_workgroup_size: 256
    .name:           _ZN9rocsparseL19coomvn_atomic_loopsILj256ELj2EiffffEEvlNS_24const_host_device_scalarIT5_EEPKT1_S6_PKT2_PKT3_PT4_21rocsparse_index_base_b
    .private_segment_fixed_size: 0
    .sgpr_count:     30
    .sgpr_spill_count: 0
    .symbol:         _ZN9rocsparseL19coomvn_atomic_loopsILj256ELj2EiffffEEvlNS_24const_host_device_scalarIT5_EEPKT1_S6_PKT2_PKT3_PT4_21rocsparse_index_base_b.kd
    .uniform_work_group_size: 1
    .uses_dynamic_stack: false
    .vgpr_count:     19
    .vgpr_spill_count: 0
    .wavefront_size: 32
  - .args:
      - .offset:         0
        .size:           8
        .value_kind:     by_value
      - .offset:         8
        .size:           8
        .value_kind:     by_value
      - .offset:         16
        .size:           8
        .value_kind:     by_value
      - .actual_access:  read_only
        .address_space:  global
        .offset:         24
        .size:           8
        .value_kind:     global_buffer
      - .actual_access:  read_only
        .address_space:  global
        .offset:         32
        .size:           8
        .value_kind:     global_buffer
      - .actual_access:  read_only
        .address_space:  global
        .offset:         40
        .size:           8
        .value_kind:     global_buffer
      - .actual_access:  read_only
        .address_space:  global
        .offset:         48
        .size:           8
        .value_kind:     global_buffer
      - .address_space:  global
        .offset:         56
        .size:           8
        .value_kind:     global_buffer
      - .actual_access:  write_only
        .address_space:  global
        .offset:         64
        .size:           8
        .value_kind:     global_buffer
      - .actual_access:  write_only
        .address_space:  global
        .offset:         72
        .size:           8
        .value_kind:     global_buffer
      - .offset:         80
        .size:           4
        .value_kind:     by_value
      - .offset:         84
        .size:           1
        .value_kind:     by_value
    .group_segment_fixed_size: 3072
    .kernarg_segment_align: 8
    .kernarg_segment_size: 88
    .language:       OpenCL C
    .language_version:
      - 2
      - 0
    .max_flat_workgroup_size: 256
    .name:           _ZN9rocsparseL22coomvn_segmented_loopsILj256ElffffEEvlT0_NS_24const_host_device_scalarIT4_EEPKS1_S6_PKT1_PKT2_PT3_PS1_PS3_21rocsparse_index_base_b
    .private_segment_fixed_size: 0
    .sgpr_count:     42
    .sgpr_spill_count: 0
    .symbol:         _ZN9rocsparseL22coomvn_segmented_loopsILj256ElffffEEvlT0_NS_24const_host_device_scalarIT4_EEPKS1_S6_PKT1_PKT2_PT3_PS1_PS3_21rocsparse_index_base_b.kd
    .uniform_work_group_size: 1
    .uses_dynamic_stack: false
    .vgpr_count:     35
    .vgpr_spill_count: 0
    .wavefront_size: 32
  - .args:
      - .offset:         0
        .size:           8
        .value_kind:     by_value
      - .offset:         8
        .size:           8
        .value_kind:     by_value
      - .actual_access:  read_only
        .address_space:  global
        .offset:         16
        .size:           8
        .value_kind:     global_buffer
      - .actual_access:  read_only
        .address_space:  global
        .offset:         24
        .size:           8
        .value_kind:     global_buffer
      - .address_space:  global
        .offset:         32
        .size:           8
        .value_kind:     global_buffer
      - .offset:         40
        .size:           1
        .value_kind:     by_value
    .group_segment_fixed_size: 3072
    .kernarg_segment_align: 8
    .kernarg_segment_size: 44
    .language:       OpenCL C
    .language_version:
      - 2
      - 0
    .max_flat_workgroup_size: 256
    .name:           _ZN9rocsparseL29coomvn_segmented_loops_reduceILj256ElffEEvT0_NS_24const_host_device_scalarIT2_EEPKS1_PKS3_PT1_b
    .private_segment_fixed_size: 0
    .sgpr_count:     20
    .sgpr_spill_count: 0
    .symbol:         _ZN9rocsparseL29coomvn_segmented_loops_reduceILj256ElffEEvT0_NS_24const_host_device_scalarIT2_EEPKS1_PKS3_PT1_b.kd
    .uniform_work_group_size: 1
    .uses_dynamic_stack: false
    .vgpr_count:     32
    .vgpr_spill_count: 0
    .wavefront_size: 32
  - .args:
      - .offset:         0
        .size:           4
        .value_kind:     by_value
      - .offset:         8
        .size:           8
        .value_kind:     by_value
      - .offset:         16
        .size:           8
        .value_kind:     by_value
      - .actual_access:  read_only
        .address_space:  global
        .offset:         24
        .size:           8
        .value_kind:     global_buffer
      - .actual_access:  read_only
        .address_space:  global
        .offset:         32
        .size:           8
        .value_kind:     global_buffer
      - .actual_access:  read_only
        .address_space:  global
        .offset:         40
        .size:           8
        .value_kind:     global_buffer
      - .actual_access:  read_only
        .address_space:  global
        .offset:         48
        .size:           8
        .value_kind:     global_buffer
      - .address_space:  global
        .offset:         56
        .size:           8
        .value_kind:     global_buffer
      - .offset:         64
        .size:           4
        .value_kind:     by_value
      - .offset:         68
        .size:           1
        .value_kind:     by_value
      - .offset:         72
        .size:           4
        .value_kind:     hidden_block_count_x
      - .offset:         76
        .size:           4
        .value_kind:     hidden_block_count_y
      - .offset:         80
        .size:           4
        .value_kind:     hidden_block_count_z
      - .offset:         84
        .size:           2
        .value_kind:     hidden_group_size_x
      - .offset:         86
        .size:           2
        .value_kind:     hidden_group_size_y
      - .offset:         88
        .size:           2
        .value_kind:     hidden_group_size_z
      - .offset:         90
        .size:           2
        .value_kind:     hidden_remainder_x
      - .offset:         92
        .size:           2
        .value_kind:     hidden_remainder_y
      - .offset:         94
        .size:           2
        .value_kind:     hidden_remainder_z
      - .offset:         112
        .size:           8
        .value_kind:     hidden_global_offset_x
      - .offset:         120
        .size:           8
        .value_kind:     hidden_global_offset_y
      - .offset:         128
        .size:           8
        .value_kind:     hidden_global_offset_z
      - .offset:         136
        .size:           2
        .value_kind:     hidden_grid_dims
    .group_segment_fixed_size: 0
    .kernarg_segment_align: 8
    .kernarg_segment_size: 328
    .language:       OpenCL C
    .language_version:
      - 2
      - 0
    .max_flat_workgroup_size: 1024
    .name:           _ZN9rocsparseL13coomvt_kernelILj1024ElffffEEv20rocsparse_operation_lNS_24const_host_device_scalarIT4_EEPKT0_S7_PKT1_PKT2_PT3_21rocsparse_index_base_b
    .private_segment_fixed_size: 0
    .sgpr_count:     18
    .sgpr_spill_count: 0
    .symbol:         _ZN9rocsparseL13coomvt_kernelILj1024ElffffEEv20rocsparse_operation_lNS_24const_host_device_scalarIT4_EEPKT0_S7_PKT1_PKT2_PT3_21rocsparse_index_base_b.kd
    .uniform_work_group_size: 1
    .uses_dynamic_stack: false
    .vgpr_count:     9
    .vgpr_spill_count: 0
    .wavefront_size: 32
  - .args:
      - .offset:         0
        .size:           8
        .value_kind:     by_value
      - .offset:         8
        .size:           8
        .value_kind:     by_value
      - .actual_access:  read_only
        .address_space:  global
        .offset:         16
        .size:           8
        .value_kind:     global_buffer
      - .actual_access:  read_only
        .address_space:  global
        .offset:         24
        .size:           8
        .value_kind:     global_buffer
      - .actual_access:  read_only
        .address_space:  global
        .offset:         32
        .size:           8
        .value_kind:     global_buffer
      - .actual_access:  read_only
        .address_space:  global
        .offset:         40
        .size:           8
        .value_kind:     global_buffer
      - .address_space:  global
        .offset:         48
        .size:           8
        .value_kind:     global_buffer
      - .offset:         56
        .size:           4
        .value_kind:     by_value
      - .offset:         60
        .size:           1
        .value_kind:     by_value
    .group_segment_fixed_size: 3072
    .kernarg_segment_align: 8
    .kernarg_segment_size: 64
    .language:       OpenCL C
    .language_version:
      - 2
      - 0
    .max_flat_workgroup_size: 256
    .name:           _ZN9rocsparseL19coomvn_atomic_loopsILj256ELj1ElffffEEvlNS_24const_host_device_scalarIT5_EEPKT1_S6_PKT2_PKT3_PT4_21rocsparse_index_base_b
    .private_segment_fixed_size: 0
    .sgpr_count:     18
    .sgpr_spill_count: 0
    .symbol:         _ZN9rocsparseL19coomvn_atomic_loopsILj256ELj1ElffffEEvlNS_24const_host_device_scalarIT5_EEPKT1_S6_PKT2_PKT3_PT4_21rocsparse_index_base_b.kd
    .uniform_work_group_size: 1
    .uses_dynamic_stack: false
    .vgpr_count:     11
    .vgpr_spill_count: 0
    .wavefront_size: 32
  - .args:
      - .offset:         0
        .size:           8
        .value_kind:     by_value
      - .offset:         8
        .size:           8
        .value_kind:     by_value
      - .actual_access:  read_only
        .address_space:  global
        .offset:         16
        .size:           8
        .value_kind:     global_buffer
      - .actual_access:  read_only
        .address_space:  global
        .offset:         24
        .size:           8
        .value_kind:     global_buffer
      - .actual_access:  read_only
        .address_space:  global
        .offset:         32
        .size:           8
        .value_kind:     global_buffer
      - .actual_access:  read_only
        .address_space:  global
        .offset:         40
        .size:           8
        .value_kind:     global_buffer
      - .address_space:  global
        .offset:         48
        .size:           8
        .value_kind:     global_buffer
      - .offset:         56
        .size:           4
        .value_kind:     by_value
      - .offset:         60
        .size:           1
        .value_kind:     by_value
    .group_segment_fixed_size: 3072
    .kernarg_segment_align: 8
    .kernarg_segment_size: 64
    .language:       OpenCL C
    .language_version:
      - 2
      - 0
    .max_flat_workgroup_size: 256
    .name:           _ZN9rocsparseL19coomvn_atomic_loopsILj256ELj2ElffffEEvlNS_24const_host_device_scalarIT5_EEPKT1_S6_PKT2_PKT3_PT4_21rocsparse_index_base_b
    .private_segment_fixed_size: 0
    .sgpr_count:     28
    .sgpr_spill_count: 0
    .symbol:         _ZN9rocsparseL19coomvn_atomic_loopsILj256ELj2ElffffEEvlNS_24const_host_device_scalarIT5_EEPKT1_S6_PKT2_PKT3_PT4_21rocsparse_index_base_b.kd
    .uniform_work_group_size: 1
    .uses_dynamic_stack: false
    .vgpr_count:     22
    .vgpr_spill_count: 0
    .wavefront_size: 32
  - .args:
      - .offset:         0
        .size:           8
        .value_kind:     by_value
      - .offset:         8
        .size:           4
        .value_kind:     by_value
      - .offset:         16
        .size:           8
        .value_kind:     by_value
      - .actual_access:  read_only
        .address_space:  global
        .offset:         24
        .size:           8
        .value_kind:     global_buffer
      - .actual_access:  read_only
        .address_space:  global
        .offset:         32
        .size:           8
        .value_kind:     global_buffer
      - .actual_access:  read_only
        .address_space:  global
        .offset:         40
        .size:           8
        .value_kind:     global_buffer
      - .actual_access:  read_only
        .address_space:  global
        .offset:         48
        .size:           8
        .value_kind:     global_buffer
      - .address_space:  global
        .offset:         56
        .size:           8
        .value_kind:     global_buffer
      - .actual_access:  write_only
        .address_space:  global
        .offset:         64
        .size:           8
        .value_kind:     global_buffer
      - .actual_access:  write_only
        .address_space:  global
        .offset:         72
        .size:           8
        .value_kind:     global_buffer
      - .offset:         80
        .size:           4
        .value_kind:     by_value
      - .offset:         84
        .size:           1
        .value_kind:     by_value
    .group_segment_fixed_size: 3072
    .kernarg_segment_align: 8
    .kernarg_segment_size: 88
    .language:       OpenCL C
    .language_version:
      - 2
      - 0
    .max_flat_workgroup_size: 256
    .name:           _ZN9rocsparseL22coomvn_segmented_loopsILj256EiddddEEvlT0_NS_24const_host_device_scalarIT4_EEPKS1_S6_PKT1_PKT2_PT3_PS1_PS3_21rocsparse_index_base_b
    .private_segment_fixed_size: 0
    .sgpr_count:     32
    .sgpr_spill_count: 0
    .symbol:         _ZN9rocsparseL22coomvn_segmented_loopsILj256EiddddEEvlT0_NS_24const_host_device_scalarIT4_EEPKS1_S6_PKT1_PKT2_PT3_PS1_PS3_21rocsparse_index_base_b.kd
    .uniform_work_group_size: 1
    .uses_dynamic_stack: false
    .vgpr_count:     38
    .vgpr_spill_count: 0
    .wavefront_size: 32
  - .args:
      - .offset:         0
        .size:           4
        .value_kind:     by_value
      - .offset:         8
        .size:           8
        .value_kind:     by_value
      - .actual_access:  read_only
        .address_space:  global
        .offset:         16
        .size:           8
        .value_kind:     global_buffer
      - .actual_access:  read_only
        .address_space:  global
        .offset:         24
        .size:           8
        .value_kind:     global_buffer
      - .address_space:  global
        .offset:         32
        .size:           8
        .value_kind:     global_buffer
      - .offset:         40
        .size:           1
        .value_kind:     by_value
    .group_segment_fixed_size: 3072
    .kernarg_segment_align: 8
    .kernarg_segment_size: 44
    .language:       OpenCL C
    .language_version:
      - 2
      - 0
    .max_flat_workgroup_size: 256
    .name:           _ZN9rocsparseL29coomvn_segmented_loops_reduceILj256EiddEEvT0_NS_24const_host_device_scalarIT2_EEPKS1_PKS3_PT1_b
    .private_segment_fixed_size: 0
    .sgpr_count:     21
    .sgpr_spill_count: 0
    .symbol:         _ZN9rocsparseL29coomvn_segmented_loops_reduceILj256EiddEEvT0_NS_24const_host_device_scalarIT2_EEPKS1_PKS3_PT1_b.kd
    .uniform_work_group_size: 1
    .uses_dynamic_stack: false
    .vgpr_count:     26
    .vgpr_spill_count: 0
    .wavefront_size: 32
  - .args:
      - .offset:         0
        .size:           4
        .value_kind:     by_value
      - .offset:         8
        .size:           8
        .value_kind:     by_value
      - .offset:         16
        .size:           8
        .value_kind:     by_value
      - .actual_access:  read_only
        .address_space:  global
        .offset:         24
        .size:           8
        .value_kind:     global_buffer
      - .actual_access:  read_only
        .address_space:  global
        .offset:         32
        .size:           8
        .value_kind:     global_buffer
      - .actual_access:  read_only
        .address_space:  global
        .offset:         40
        .size:           8
        .value_kind:     global_buffer
      - .actual_access:  read_only
        .address_space:  global
        .offset:         48
        .size:           8
        .value_kind:     global_buffer
      - .address_space:  global
        .offset:         56
        .size:           8
        .value_kind:     global_buffer
      - .offset:         64
        .size:           4
        .value_kind:     by_value
      - .offset:         68
        .size:           1
        .value_kind:     by_value
      - .offset:         72
        .size:           4
        .value_kind:     hidden_block_count_x
      - .offset:         76
        .size:           4
        .value_kind:     hidden_block_count_y
      - .offset:         80
        .size:           4
        .value_kind:     hidden_block_count_z
      - .offset:         84
        .size:           2
        .value_kind:     hidden_group_size_x
      - .offset:         86
        .size:           2
        .value_kind:     hidden_group_size_y
      - .offset:         88
        .size:           2
        .value_kind:     hidden_group_size_z
      - .offset:         90
        .size:           2
        .value_kind:     hidden_remainder_x
      - .offset:         92
        .size:           2
        .value_kind:     hidden_remainder_y
      - .offset:         94
        .size:           2
        .value_kind:     hidden_remainder_z
      - .offset:         112
        .size:           8
        .value_kind:     hidden_global_offset_x
      - .offset:         120
        .size:           8
        .value_kind:     hidden_global_offset_y
      - .offset:         128
        .size:           8
        .value_kind:     hidden_global_offset_z
      - .offset:         136
        .size:           2
        .value_kind:     hidden_grid_dims
    .group_segment_fixed_size: 0
    .kernarg_segment_align: 8
    .kernarg_segment_size: 328
    .language:       OpenCL C
    .language_version:
      - 2
      - 0
    .max_flat_workgroup_size: 1024
    .name:           _ZN9rocsparseL13coomvt_kernelILj1024EiddddEEv20rocsparse_operation_lNS_24const_host_device_scalarIT4_EEPKT0_S7_PKT1_PKT2_PT3_21rocsparse_index_base_b
    .private_segment_fixed_size: 0
    .sgpr_count:     14
    .sgpr_spill_count: 0
    .symbol:         _ZN9rocsparseL13coomvt_kernelILj1024EiddddEEv20rocsparse_operation_lNS_24const_host_device_scalarIT4_EEPKT0_S7_PKT1_PKT2_PT3_21rocsparse_index_base_b.kd
    .uniform_work_group_size: 1
    .uses_dynamic_stack: false
    .vgpr_count:     8
    .vgpr_spill_count: 0
    .wavefront_size: 32
  - .args:
      - .offset:         0
        .size:           8
        .value_kind:     by_value
      - .offset:         8
        .size:           8
        .value_kind:     by_value
      - .actual_access:  read_only
        .address_space:  global
        .offset:         16
        .size:           8
        .value_kind:     global_buffer
      - .actual_access:  read_only
        .address_space:  global
        .offset:         24
        .size:           8
        .value_kind:     global_buffer
      - .actual_access:  read_only
        .address_space:  global
        .offset:         32
        .size:           8
        .value_kind:     global_buffer
      - .actual_access:  read_only
        .address_space:  global
        .offset:         40
        .size:           8
        .value_kind:     global_buffer
      - .address_space:  global
        .offset:         48
        .size:           8
        .value_kind:     global_buffer
      - .offset:         56
        .size:           4
        .value_kind:     by_value
      - .offset:         60
        .size:           1
        .value_kind:     by_value
    .group_segment_fixed_size: 3072
    .kernarg_segment_align: 8
    .kernarg_segment_size: 64
    .language:       OpenCL C
    .language_version:
      - 2
      - 0
    .max_flat_workgroup_size: 256
    .name:           _ZN9rocsparseL19coomvn_atomic_loopsILj256ELj1EiddddEEvlNS_24const_host_device_scalarIT5_EEPKT1_S6_PKT2_PKT3_PT4_21rocsparse_index_base_b
    .private_segment_fixed_size: 0
    .sgpr_count:     14
    .sgpr_spill_count: 0
    .symbol:         _ZN9rocsparseL19coomvn_atomic_loopsILj256ELj1EiddddEEvlNS_24const_host_device_scalarIT5_EEPKT1_S6_PKT2_PKT3_PT4_21rocsparse_index_base_b.kd
    .uniform_work_group_size: 1
    .uses_dynamic_stack: false
    .vgpr_count:     12
    .vgpr_spill_count: 0
    .wavefront_size: 32
  - .args:
      - .offset:         0
        .size:           8
        .value_kind:     by_value
      - .offset:         8
        .size:           8
        .value_kind:     by_value
      - .actual_access:  read_only
        .address_space:  global
        .offset:         16
        .size:           8
        .value_kind:     global_buffer
      - .actual_access:  read_only
        .address_space:  global
        .offset:         24
        .size:           8
        .value_kind:     global_buffer
      - .actual_access:  read_only
        .address_space:  global
        .offset:         32
        .size:           8
        .value_kind:     global_buffer
      - .actual_access:  read_only
        .address_space:  global
        .offset:         40
        .size:           8
        .value_kind:     global_buffer
      - .address_space:  global
        .offset:         48
        .size:           8
        .value_kind:     global_buffer
      - .offset:         56
        .size:           4
        .value_kind:     by_value
      - .offset:         60
        .size:           1
        .value_kind:     by_value
    .group_segment_fixed_size: 3072
    .kernarg_segment_align: 8
    .kernarg_segment_size: 64
    .language:       OpenCL C
    .language_version:
      - 2
      - 0
    .max_flat_workgroup_size: 256
    .name:           _ZN9rocsparseL19coomvn_atomic_loopsILj256ELj2EiddddEEvlNS_24const_host_device_scalarIT5_EEPKT1_S6_PKT2_PKT3_PT4_21rocsparse_index_base_b
    .private_segment_fixed_size: 0
    .sgpr_count:     28
    .sgpr_spill_count: 0
    .symbol:         _ZN9rocsparseL19coomvn_atomic_loopsILj256ELj2EiddddEEvlNS_24const_host_device_scalarIT5_EEPKT1_S6_PKT2_PKT3_PT4_21rocsparse_index_base_b.kd
    .uniform_work_group_size: 1
    .uses_dynamic_stack: false
    .vgpr_count:     24
    .vgpr_spill_count: 0
    .wavefront_size: 32
  - .args:
      - .offset:         0
        .size:           8
        .value_kind:     by_value
      - .offset:         8
        .size:           8
        .value_kind:     by_value
      - .offset:         16
        .size:           8
        .value_kind:     by_value
      - .actual_access:  read_only
        .address_space:  global
        .offset:         24
        .size:           8
        .value_kind:     global_buffer
      - .actual_access:  read_only
        .address_space:  global
        .offset:         32
        .size:           8
        .value_kind:     global_buffer
      - .actual_access:  read_only
        .address_space:  global
        .offset:         40
        .size:           8
        .value_kind:     global_buffer
      - .actual_access:  read_only
        .address_space:  global
        .offset:         48
        .size:           8
        .value_kind:     global_buffer
      - .address_space:  global
        .offset:         56
        .size:           8
        .value_kind:     global_buffer
      - .actual_access:  write_only
        .address_space:  global
        .offset:         64
        .size:           8
        .value_kind:     global_buffer
      - .actual_access:  write_only
        .address_space:  global
        .offset:         72
        .size:           8
        .value_kind:     global_buffer
      - .offset:         80
        .size:           4
        .value_kind:     by_value
      - .offset:         84
        .size:           1
        .value_kind:     by_value
    .group_segment_fixed_size: 4096
    .kernarg_segment_align: 8
    .kernarg_segment_size: 88
    .language:       OpenCL C
    .language_version:
      - 2
      - 0
    .max_flat_workgroup_size: 256
    .name:           _ZN9rocsparseL22coomvn_segmented_loopsILj256ElddddEEvlT0_NS_24const_host_device_scalarIT4_EEPKS1_S6_PKT1_PKT2_PT3_PS1_PS3_21rocsparse_index_base_b
    .private_segment_fixed_size: 0
    .sgpr_count:     38
    .sgpr_spill_count: 0
    .symbol:         _ZN9rocsparseL22coomvn_segmented_loopsILj256ElddddEEvlT0_NS_24const_host_device_scalarIT4_EEPKS1_S6_PKT1_PKT2_PT3_PS1_PS3_21rocsparse_index_base_b.kd
    .uniform_work_group_size: 1
    .uses_dynamic_stack: false
    .vgpr_count:     40
    .vgpr_spill_count: 0
    .wavefront_size: 32
  - .args:
      - .offset:         0
        .size:           8
        .value_kind:     by_value
      - .offset:         8
        .size:           8
        .value_kind:     by_value
      - .actual_access:  read_only
        .address_space:  global
        .offset:         16
        .size:           8
        .value_kind:     global_buffer
      - .actual_access:  read_only
        .address_space:  global
        .offset:         24
        .size:           8
        .value_kind:     global_buffer
      - .address_space:  global
        .offset:         32
        .size:           8
        .value_kind:     global_buffer
      - .offset:         40
        .size:           1
        .value_kind:     by_value
    .group_segment_fixed_size: 4096
    .kernarg_segment_align: 8
    .kernarg_segment_size: 44
    .language:       OpenCL C
    .language_version:
      - 2
      - 0
    .max_flat_workgroup_size: 256
    .name:           _ZN9rocsparseL29coomvn_segmented_loops_reduceILj256ElddEEvT0_NS_24const_host_device_scalarIT2_EEPKS1_PKS3_PT1_b
    .private_segment_fixed_size: 0
    .sgpr_count:     20
    .sgpr_spill_count: 0
    .symbol:         _ZN9rocsparseL29coomvn_segmented_loops_reduceILj256ElddEEvT0_NS_24const_host_device_scalarIT2_EEPKS1_PKS3_PT1_b.kd
    .uniform_work_group_size: 1
    .uses_dynamic_stack: false
    .vgpr_count:     30
    .vgpr_spill_count: 0
    .wavefront_size: 32
  - .args:
      - .offset:         0
        .size:           4
        .value_kind:     by_value
      - .offset:         8
        .size:           8
        .value_kind:     by_value
      - .offset:         16
        .size:           8
        .value_kind:     by_value
      - .actual_access:  read_only
        .address_space:  global
        .offset:         24
        .size:           8
        .value_kind:     global_buffer
      - .actual_access:  read_only
        .address_space:  global
        .offset:         32
        .size:           8
        .value_kind:     global_buffer
      - .actual_access:  read_only
        .address_space:  global
        .offset:         40
        .size:           8
        .value_kind:     global_buffer
      - .actual_access:  read_only
        .address_space:  global
        .offset:         48
        .size:           8
        .value_kind:     global_buffer
      - .address_space:  global
        .offset:         56
        .size:           8
        .value_kind:     global_buffer
      - .offset:         64
        .size:           4
        .value_kind:     by_value
      - .offset:         68
        .size:           1
        .value_kind:     by_value
      - .offset:         72
        .size:           4
        .value_kind:     hidden_block_count_x
      - .offset:         76
        .size:           4
        .value_kind:     hidden_block_count_y
      - .offset:         80
        .size:           4
        .value_kind:     hidden_block_count_z
      - .offset:         84
        .size:           2
        .value_kind:     hidden_group_size_x
      - .offset:         86
        .size:           2
        .value_kind:     hidden_group_size_y
      - .offset:         88
        .size:           2
        .value_kind:     hidden_group_size_z
      - .offset:         90
        .size:           2
        .value_kind:     hidden_remainder_x
      - .offset:         92
        .size:           2
        .value_kind:     hidden_remainder_y
      - .offset:         94
        .size:           2
        .value_kind:     hidden_remainder_z
      - .offset:         112
        .size:           8
        .value_kind:     hidden_global_offset_x
      - .offset:         120
        .size:           8
        .value_kind:     hidden_global_offset_y
      - .offset:         128
        .size:           8
        .value_kind:     hidden_global_offset_z
      - .offset:         136
        .size:           2
        .value_kind:     hidden_grid_dims
    .group_segment_fixed_size: 0
    .kernarg_segment_align: 8
    .kernarg_segment_size: 328
    .language:       OpenCL C
    .language_version:
      - 2
      - 0
    .max_flat_workgroup_size: 1024
    .name:           _ZN9rocsparseL13coomvt_kernelILj1024ElddddEEv20rocsparse_operation_lNS_24const_host_device_scalarIT4_EEPKT0_S7_PKT1_PKT2_PT3_21rocsparse_index_base_b
    .private_segment_fixed_size: 0
    .sgpr_count:     14
    .sgpr_spill_count: 0
    .symbol:         _ZN9rocsparseL13coomvt_kernelILj1024ElddddEEv20rocsparse_operation_lNS_24const_host_device_scalarIT4_EEPKT0_S7_PKT1_PKT2_PT3_21rocsparse_index_base_b.kd
    .uniform_work_group_size: 1
    .uses_dynamic_stack: false
    .vgpr_count:     8
    .vgpr_spill_count: 0
    .wavefront_size: 32
  - .args:
      - .offset:         0
        .size:           8
        .value_kind:     by_value
      - .offset:         8
        .size:           8
        .value_kind:     by_value
      - .actual_access:  read_only
        .address_space:  global
        .offset:         16
        .size:           8
        .value_kind:     global_buffer
      - .actual_access:  read_only
        .address_space:  global
        .offset:         24
        .size:           8
        .value_kind:     global_buffer
      - .actual_access:  read_only
        .address_space:  global
        .offset:         32
        .size:           8
        .value_kind:     global_buffer
      - .actual_access:  read_only
        .address_space:  global
        .offset:         40
        .size:           8
        .value_kind:     global_buffer
      - .address_space:  global
        .offset:         48
        .size:           8
        .value_kind:     global_buffer
      - .offset:         56
        .size:           4
        .value_kind:     by_value
      - .offset:         60
        .size:           1
        .value_kind:     by_value
    .group_segment_fixed_size: 4096
    .kernarg_segment_align: 8
    .kernarg_segment_size: 64
    .language:       OpenCL C
    .language_version:
      - 2
      - 0
    .max_flat_workgroup_size: 256
    .name:           _ZN9rocsparseL19coomvn_atomic_loopsILj256ELj1ElddddEEvlNS_24const_host_device_scalarIT5_EEPKT1_S6_PKT2_PKT3_PT4_21rocsparse_index_base_b
    .private_segment_fixed_size: 0
    .sgpr_count:     18
    .sgpr_spill_count: 0
    .symbol:         _ZN9rocsparseL19coomvn_atomic_loopsILj256ELj1ElddddEEvlNS_24const_host_device_scalarIT5_EEPKT1_S6_PKT2_PKT3_PT4_21rocsparse_index_base_b.kd
    .uniform_work_group_size: 1
    .uses_dynamic_stack: false
    .vgpr_count:     14
    .vgpr_spill_count: 0
    .wavefront_size: 32
  - .args:
      - .offset:         0
        .size:           8
        .value_kind:     by_value
      - .offset:         8
        .size:           8
        .value_kind:     by_value
      - .actual_access:  read_only
        .address_space:  global
        .offset:         16
        .size:           8
        .value_kind:     global_buffer
      - .actual_access:  read_only
        .address_space:  global
        .offset:         24
        .size:           8
        .value_kind:     global_buffer
      - .actual_access:  read_only
        .address_space:  global
        .offset:         32
        .size:           8
        .value_kind:     global_buffer
      - .actual_access:  read_only
        .address_space:  global
        .offset:         40
        .size:           8
        .value_kind:     global_buffer
      - .address_space:  global
        .offset:         48
        .size:           8
        .value_kind:     global_buffer
      - .offset:         56
        .size:           4
        .value_kind:     by_value
      - .offset:         60
        .size:           1
        .value_kind:     by_value
    .group_segment_fixed_size: 4096
    .kernarg_segment_align: 8
    .kernarg_segment_size: 64
    .language:       OpenCL C
    .language_version:
      - 2
      - 0
    .max_flat_workgroup_size: 256
    .name:           _ZN9rocsparseL19coomvn_atomic_loopsILj256ELj2ElddddEEvlNS_24const_host_device_scalarIT5_EEPKT1_S6_PKT2_PKT3_PT4_21rocsparse_index_base_b
    .private_segment_fixed_size: 0
    .sgpr_count:     28
    .sgpr_spill_count: 0
    .symbol:         _ZN9rocsparseL19coomvn_atomic_loopsILj256ELj2ElddddEEvlNS_24const_host_device_scalarIT5_EEPKT1_S6_PKT2_PKT3_PT4_21rocsparse_index_base_b.kd
    .uniform_work_group_size: 1
    .uses_dynamic_stack: false
    .vgpr_count:     23
    .vgpr_spill_count: 0
    .wavefront_size: 32
  - .args:
      - .offset:         0
        .size:           8
        .value_kind:     by_value
      - .offset:         8
        .size:           4
        .value_kind:     by_value
      - .offset:         16
        .size:           8
        .value_kind:     by_value
      - .actual_access:  read_only
        .address_space:  global
        .offset:         24
        .size:           8
        .value_kind:     global_buffer
      - .actual_access:  read_only
        .address_space:  global
        .offset:         32
        .size:           8
        .value_kind:     global_buffer
      - .actual_access:  read_only
        .address_space:  global
        .offset:         40
        .size:           8
        .value_kind:     global_buffer
      - .actual_access:  read_only
        .address_space:  global
        .offset:         48
        .size:           8
        .value_kind:     global_buffer
      - .address_space:  global
        .offset:         56
        .size:           8
        .value_kind:     global_buffer
      - .actual_access:  write_only
        .address_space:  global
        .offset:         64
        .size:           8
        .value_kind:     global_buffer
      - .actual_access:  write_only
        .address_space:  global
        .offset:         72
        .size:           8
        .value_kind:     global_buffer
      - .offset:         80
        .size:           4
        .value_kind:     by_value
      - .offset:         84
        .size:           1
        .value_kind:     by_value
    .group_segment_fixed_size: 3072
    .kernarg_segment_align: 8
    .kernarg_segment_size: 88
    .language:       OpenCL C
    .language_version:
      - 2
      - 0
    .max_flat_workgroup_size: 256
    .name:           _ZN9rocsparseL22coomvn_segmented_loopsILj256Ei21rocsparse_complex_numIfES2_S2_S2_EEvlT0_NS_24const_host_device_scalarIT4_EEPKS3_S8_PKT1_PKT2_PT3_PS3_PS5_21rocsparse_index_base_b
    .private_segment_fixed_size: 0
    .sgpr_count:     32
    .sgpr_spill_count: 0
    .symbol:         _ZN9rocsparseL22coomvn_segmented_loopsILj256Ei21rocsparse_complex_numIfES2_S2_S2_EEvlT0_NS_24const_host_device_scalarIT4_EEPKS3_S8_PKT1_PKT2_PT3_PS3_PS5_21rocsparse_index_base_b.kd
    .uniform_work_group_size: 1
    .uses_dynamic_stack: false
    .vgpr_count:     40
    .vgpr_spill_count: 0
    .wavefront_size: 32
  - .args:
      - .offset:         0
        .size:           4
        .value_kind:     by_value
      - .offset:         8
        .size:           8
        .value_kind:     by_value
      - .actual_access:  read_only
        .address_space:  global
        .offset:         16
        .size:           8
        .value_kind:     global_buffer
      - .actual_access:  read_only
        .address_space:  global
        .offset:         24
        .size:           8
        .value_kind:     global_buffer
      - .address_space:  global
        .offset:         32
        .size:           8
        .value_kind:     global_buffer
      - .offset:         40
        .size:           1
        .value_kind:     by_value
    .group_segment_fixed_size: 3072
    .kernarg_segment_align: 8
    .kernarg_segment_size: 44
    .language:       OpenCL C
    .language_version:
      - 2
      - 0
    .max_flat_workgroup_size: 256
    .name:           _ZN9rocsparseL29coomvn_segmented_loops_reduceILj256Ei21rocsparse_complex_numIfES2_EEvT0_NS_24const_host_device_scalarIT2_EEPKS3_PKS5_PT1_b
    .private_segment_fixed_size: 0
    .sgpr_count:     21
    .sgpr_spill_count: 0
    .symbol:         _ZN9rocsparseL29coomvn_segmented_loops_reduceILj256Ei21rocsparse_complex_numIfES2_EEvT0_NS_24const_host_device_scalarIT2_EEPKS3_PKS5_PT1_b.kd
    .uniform_work_group_size: 1
    .uses_dynamic_stack: false
    .vgpr_count:     26
    .vgpr_spill_count: 0
    .wavefront_size: 32
  - .args:
      - .offset:         0
        .size:           4
        .value_kind:     by_value
      - .offset:         8
        .size:           8
        .value_kind:     by_value
      - .offset:         16
        .size:           8
        .value_kind:     by_value
      - .actual_access:  read_only
        .address_space:  global
        .offset:         24
        .size:           8
        .value_kind:     global_buffer
      - .actual_access:  read_only
        .address_space:  global
        .offset:         32
        .size:           8
        .value_kind:     global_buffer
      - .actual_access:  read_only
        .address_space:  global
        .offset:         40
        .size:           8
        .value_kind:     global_buffer
      - .actual_access:  read_only
        .address_space:  global
        .offset:         48
        .size:           8
        .value_kind:     global_buffer
      - .address_space:  global
        .offset:         56
        .size:           8
        .value_kind:     global_buffer
      - .offset:         64
        .size:           4
        .value_kind:     by_value
      - .offset:         68
        .size:           1
        .value_kind:     by_value
      - .offset:         72
        .size:           4
        .value_kind:     hidden_block_count_x
      - .offset:         76
        .size:           4
        .value_kind:     hidden_block_count_y
      - .offset:         80
        .size:           4
        .value_kind:     hidden_block_count_z
      - .offset:         84
        .size:           2
        .value_kind:     hidden_group_size_x
      - .offset:         86
        .size:           2
        .value_kind:     hidden_group_size_y
      - .offset:         88
        .size:           2
        .value_kind:     hidden_group_size_z
      - .offset:         90
        .size:           2
        .value_kind:     hidden_remainder_x
      - .offset:         92
        .size:           2
        .value_kind:     hidden_remainder_y
      - .offset:         94
        .size:           2
        .value_kind:     hidden_remainder_z
      - .offset:         112
        .size:           8
        .value_kind:     hidden_global_offset_x
      - .offset:         120
        .size:           8
        .value_kind:     hidden_global_offset_y
      - .offset:         128
        .size:           8
        .value_kind:     hidden_global_offset_z
      - .offset:         136
        .size:           2
        .value_kind:     hidden_grid_dims
    .group_segment_fixed_size: 0
    .kernarg_segment_align: 8
    .kernarg_segment_size: 328
    .language:       OpenCL C
    .language_version:
      - 2
      - 0
    .max_flat_workgroup_size: 1024
    .name:           _ZN9rocsparseL13coomvt_kernelILj1024Ei21rocsparse_complex_numIfES2_S2_S2_EEv20rocsparse_operation_lNS_24const_host_device_scalarIT4_EEPKT0_S9_PKT1_PKT2_PT3_21rocsparse_index_base_b
    .private_segment_fixed_size: 0
    .sgpr_count:     22
    .sgpr_spill_count: 0
    .symbol:         _ZN9rocsparseL13coomvt_kernelILj1024Ei21rocsparse_complex_numIfES2_S2_S2_EEv20rocsparse_operation_lNS_24const_host_device_scalarIT4_EEPKT0_S9_PKT1_PKT2_PT3_21rocsparse_index_base_b.kd
    .uniform_work_group_size: 1
    .uses_dynamic_stack: false
    .vgpr_count:     10
    .vgpr_spill_count: 0
    .wavefront_size: 32
  - .args:
      - .offset:         0
        .size:           8
        .value_kind:     by_value
      - .offset:         8
        .size:           8
        .value_kind:     by_value
      - .actual_access:  read_only
        .address_space:  global
        .offset:         16
        .size:           8
        .value_kind:     global_buffer
      - .actual_access:  read_only
        .address_space:  global
        .offset:         24
        .size:           8
        .value_kind:     global_buffer
      - .actual_access:  read_only
        .address_space:  global
        .offset:         32
        .size:           8
        .value_kind:     global_buffer
      - .actual_access:  read_only
        .address_space:  global
        .offset:         40
        .size:           8
        .value_kind:     global_buffer
      - .address_space:  global
        .offset:         48
        .size:           8
        .value_kind:     global_buffer
      - .offset:         56
        .size:           4
        .value_kind:     by_value
      - .offset:         60
        .size:           1
        .value_kind:     by_value
    .group_segment_fixed_size: 3072
    .kernarg_segment_align: 8
    .kernarg_segment_size: 64
    .language:       OpenCL C
    .language_version:
      - 2
      - 0
    .max_flat_workgroup_size: 256
    .name:           _ZN9rocsparseL19coomvn_atomic_loopsILj256ELj1Ei21rocsparse_complex_numIfES2_S2_S2_EEvlNS_24const_host_device_scalarIT5_EEPKT1_S8_PKT2_PKT3_PT4_21rocsparse_index_base_b
    .private_segment_fixed_size: 0
    .sgpr_count:     22
    .sgpr_spill_count: 0
    .symbol:         _ZN9rocsparseL19coomvn_atomic_loopsILj256ELj1Ei21rocsparse_complex_numIfES2_S2_S2_EEvlNS_24const_host_device_scalarIT5_EEPKT1_S8_PKT2_PKT3_PT4_21rocsparse_index_base_b.kd
    .uniform_work_group_size: 1
    .uses_dynamic_stack: false
    .vgpr_count:     13
    .vgpr_spill_count: 0
    .wavefront_size: 32
  - .args:
      - .offset:         0
        .size:           8
        .value_kind:     by_value
      - .offset:         8
        .size:           8
        .value_kind:     by_value
      - .actual_access:  read_only
        .address_space:  global
        .offset:         16
        .size:           8
        .value_kind:     global_buffer
      - .actual_access:  read_only
        .address_space:  global
        .offset:         24
        .size:           8
        .value_kind:     global_buffer
      - .actual_access:  read_only
        .address_space:  global
        .offset:         32
        .size:           8
        .value_kind:     global_buffer
      - .actual_access:  read_only
        .address_space:  global
        .offset:         40
        .size:           8
        .value_kind:     global_buffer
      - .address_space:  global
        .offset:         48
        .size:           8
        .value_kind:     global_buffer
      - .offset:         56
        .size:           4
        .value_kind:     by_value
      - .offset:         60
        .size:           1
        .value_kind:     by_value
    .group_segment_fixed_size: 3072
    .kernarg_segment_align: 8
    .kernarg_segment_size: 64
    .language:       OpenCL C
    .language_version:
      - 2
      - 0
    .max_flat_workgroup_size: 256
    .name:           _ZN9rocsparseL19coomvn_atomic_loopsILj256ELj2Ei21rocsparse_complex_numIfES2_S2_S2_EEvlNS_24const_host_device_scalarIT5_EEPKT1_S8_PKT2_PKT3_PT4_21rocsparse_index_base_b
    .private_segment_fixed_size: 0
    .sgpr_count:     28
    .sgpr_spill_count: 0
    .symbol:         _ZN9rocsparseL19coomvn_atomic_loopsILj256ELj2Ei21rocsparse_complex_numIfES2_S2_S2_EEvlNS_24const_host_device_scalarIT5_EEPKT1_S8_PKT2_PKT3_PT4_21rocsparse_index_base_b.kd
    .uniform_work_group_size: 1
    .uses_dynamic_stack: false
    .vgpr_count:     26
    .vgpr_spill_count: 0
    .wavefront_size: 32
  - .args:
      - .offset:         0
        .size:           8
        .value_kind:     by_value
      - .offset:         8
        .size:           8
        .value_kind:     by_value
      - .offset:         16
        .size:           8
        .value_kind:     by_value
      - .actual_access:  read_only
        .address_space:  global
        .offset:         24
        .size:           8
        .value_kind:     global_buffer
      - .actual_access:  read_only
        .address_space:  global
        .offset:         32
        .size:           8
        .value_kind:     global_buffer
      - .actual_access:  read_only
        .address_space:  global
        .offset:         40
        .size:           8
        .value_kind:     global_buffer
      - .actual_access:  read_only
        .address_space:  global
        .offset:         48
        .size:           8
        .value_kind:     global_buffer
      - .address_space:  global
        .offset:         56
        .size:           8
        .value_kind:     global_buffer
      - .actual_access:  write_only
        .address_space:  global
        .offset:         64
        .size:           8
        .value_kind:     global_buffer
      - .actual_access:  write_only
        .address_space:  global
        .offset:         72
        .size:           8
        .value_kind:     global_buffer
      - .offset:         80
        .size:           4
        .value_kind:     by_value
      - .offset:         84
        .size:           1
        .value_kind:     by_value
    .group_segment_fixed_size: 4096
    .kernarg_segment_align: 8
    .kernarg_segment_size: 88
    .language:       OpenCL C
    .language_version:
      - 2
      - 0
    .max_flat_workgroup_size: 256
    .name:           _ZN9rocsparseL22coomvn_segmented_loopsILj256El21rocsparse_complex_numIfES2_S2_S2_EEvlT0_NS_24const_host_device_scalarIT4_EEPKS3_S8_PKT1_PKT2_PT3_PS3_PS5_21rocsparse_index_base_b
    .private_segment_fixed_size: 0
    .sgpr_count:     38
    .sgpr_spill_count: 0
    .symbol:         _ZN9rocsparseL22coomvn_segmented_loopsILj256El21rocsparse_complex_numIfES2_S2_S2_EEvlT0_NS_24const_host_device_scalarIT4_EEPKS3_S8_PKT1_PKT2_PT3_PS3_PS5_21rocsparse_index_base_b.kd
    .uniform_work_group_size: 1
    .uses_dynamic_stack: false
    .vgpr_count:     42
    .vgpr_spill_count: 0
    .wavefront_size: 32
  - .args:
      - .offset:         0
        .size:           8
        .value_kind:     by_value
      - .offset:         8
        .size:           8
        .value_kind:     by_value
      - .actual_access:  read_only
        .address_space:  global
        .offset:         16
        .size:           8
        .value_kind:     global_buffer
      - .actual_access:  read_only
        .address_space:  global
        .offset:         24
        .size:           8
        .value_kind:     global_buffer
      - .address_space:  global
        .offset:         32
        .size:           8
        .value_kind:     global_buffer
      - .offset:         40
        .size:           1
        .value_kind:     by_value
    .group_segment_fixed_size: 4096
    .kernarg_segment_align: 8
    .kernarg_segment_size: 44
    .language:       OpenCL C
    .language_version:
      - 2
      - 0
    .max_flat_workgroup_size: 256
    .name:           _ZN9rocsparseL29coomvn_segmented_loops_reduceILj256El21rocsparse_complex_numIfES2_EEvT0_NS_24const_host_device_scalarIT2_EEPKS3_PKS5_PT1_b
    .private_segment_fixed_size: 0
    .sgpr_count:     20
    .sgpr_spill_count: 0
    .symbol:         _ZN9rocsparseL29coomvn_segmented_loops_reduceILj256El21rocsparse_complex_numIfES2_EEvT0_NS_24const_host_device_scalarIT2_EEPKS3_PKS5_PT1_b.kd
    .uniform_work_group_size: 1
    .uses_dynamic_stack: false
    .vgpr_count:     32
    .vgpr_spill_count: 0
    .wavefront_size: 32
  - .args:
      - .offset:         0
        .size:           4
        .value_kind:     by_value
      - .offset:         8
        .size:           8
        .value_kind:     by_value
      - .offset:         16
        .size:           8
        .value_kind:     by_value
      - .actual_access:  read_only
        .address_space:  global
        .offset:         24
        .size:           8
        .value_kind:     global_buffer
      - .actual_access:  read_only
        .address_space:  global
        .offset:         32
        .size:           8
        .value_kind:     global_buffer
      - .actual_access:  read_only
        .address_space:  global
        .offset:         40
        .size:           8
        .value_kind:     global_buffer
      - .actual_access:  read_only
        .address_space:  global
        .offset:         48
        .size:           8
        .value_kind:     global_buffer
      - .address_space:  global
        .offset:         56
        .size:           8
        .value_kind:     global_buffer
      - .offset:         64
        .size:           4
        .value_kind:     by_value
      - .offset:         68
        .size:           1
        .value_kind:     by_value
      - .offset:         72
        .size:           4
        .value_kind:     hidden_block_count_x
      - .offset:         76
        .size:           4
        .value_kind:     hidden_block_count_y
      - .offset:         80
        .size:           4
        .value_kind:     hidden_block_count_z
      - .offset:         84
        .size:           2
        .value_kind:     hidden_group_size_x
      - .offset:         86
        .size:           2
        .value_kind:     hidden_group_size_y
      - .offset:         88
        .size:           2
        .value_kind:     hidden_group_size_z
      - .offset:         90
        .size:           2
        .value_kind:     hidden_remainder_x
      - .offset:         92
        .size:           2
        .value_kind:     hidden_remainder_y
      - .offset:         94
        .size:           2
        .value_kind:     hidden_remainder_z
      - .offset:         112
        .size:           8
        .value_kind:     hidden_global_offset_x
      - .offset:         120
        .size:           8
        .value_kind:     hidden_global_offset_y
      - .offset:         128
        .size:           8
        .value_kind:     hidden_global_offset_z
      - .offset:         136
        .size:           2
        .value_kind:     hidden_grid_dims
    .group_segment_fixed_size: 0
    .kernarg_segment_align: 8
    .kernarg_segment_size: 328
    .language:       OpenCL C
    .language_version:
      - 2
      - 0
    .max_flat_workgroup_size: 1024
    .name:           _ZN9rocsparseL13coomvt_kernelILj1024El21rocsparse_complex_numIfES2_S2_S2_EEv20rocsparse_operation_lNS_24const_host_device_scalarIT4_EEPKT0_S9_PKT1_PKT2_PT3_21rocsparse_index_base_b
    .private_segment_fixed_size: 0
    .sgpr_count:     22
    .sgpr_spill_count: 0
    .symbol:         _ZN9rocsparseL13coomvt_kernelILj1024El21rocsparse_complex_numIfES2_S2_S2_EEv20rocsparse_operation_lNS_24const_host_device_scalarIT4_EEPKT0_S9_PKT1_PKT2_PT3_21rocsparse_index_base_b.kd
    .uniform_work_group_size: 1
    .uses_dynamic_stack: false
    .vgpr_count:     12
    .vgpr_spill_count: 0
    .wavefront_size: 32
  - .args:
      - .offset:         0
        .size:           8
        .value_kind:     by_value
      - .offset:         8
        .size:           8
        .value_kind:     by_value
      - .actual_access:  read_only
        .address_space:  global
        .offset:         16
        .size:           8
        .value_kind:     global_buffer
      - .actual_access:  read_only
        .address_space:  global
        .offset:         24
        .size:           8
        .value_kind:     global_buffer
      - .actual_access:  read_only
        .address_space:  global
        .offset:         32
        .size:           8
        .value_kind:     global_buffer
      - .actual_access:  read_only
        .address_space:  global
        .offset:         40
        .size:           8
        .value_kind:     global_buffer
      - .address_space:  global
        .offset:         48
        .size:           8
        .value_kind:     global_buffer
      - .offset:         56
        .size:           4
        .value_kind:     by_value
      - .offset:         60
        .size:           1
        .value_kind:     by_value
    .group_segment_fixed_size: 4096
    .kernarg_segment_align: 8
    .kernarg_segment_size: 64
    .language:       OpenCL C
    .language_version:
      - 2
      - 0
    .max_flat_workgroup_size: 256
    .name:           _ZN9rocsparseL19coomvn_atomic_loopsILj256ELj1El21rocsparse_complex_numIfES2_S2_S2_EEvlNS_24const_host_device_scalarIT5_EEPKT1_S8_PKT2_PKT3_PT4_21rocsparse_index_base_b
    .private_segment_fixed_size: 0
    .sgpr_count:     22
    .sgpr_spill_count: 0
    .symbol:         _ZN9rocsparseL19coomvn_atomic_loopsILj256ELj1El21rocsparse_complex_numIfES2_S2_S2_EEvlNS_24const_host_device_scalarIT5_EEPKT1_S8_PKT2_PKT3_PT4_21rocsparse_index_base_b.kd
    .uniform_work_group_size: 1
    .uses_dynamic_stack: false
    .vgpr_count:     16
    .vgpr_spill_count: 0
    .wavefront_size: 32
  - .args:
      - .offset:         0
        .size:           8
        .value_kind:     by_value
      - .offset:         8
        .size:           8
        .value_kind:     by_value
      - .actual_access:  read_only
        .address_space:  global
        .offset:         16
        .size:           8
        .value_kind:     global_buffer
      - .actual_access:  read_only
        .address_space:  global
        .offset:         24
        .size:           8
        .value_kind:     global_buffer
      - .actual_access:  read_only
        .address_space:  global
        .offset:         32
        .size:           8
        .value_kind:     global_buffer
      - .actual_access:  read_only
        .address_space:  global
        .offset:         40
        .size:           8
        .value_kind:     global_buffer
      - .address_space:  global
        .offset:         48
        .size:           8
        .value_kind:     global_buffer
      - .offset:         56
        .size:           4
        .value_kind:     by_value
      - .offset:         60
        .size:           1
        .value_kind:     by_value
    .group_segment_fixed_size: 4096
    .kernarg_segment_align: 8
    .kernarg_segment_size: 64
    .language:       OpenCL C
    .language_version:
      - 2
      - 0
    .max_flat_workgroup_size: 256
    .name:           _ZN9rocsparseL19coomvn_atomic_loopsILj256ELj2El21rocsparse_complex_numIfES2_S2_S2_EEvlNS_24const_host_device_scalarIT5_EEPKT1_S8_PKT2_PKT3_PT4_21rocsparse_index_base_b
    .private_segment_fixed_size: 0
    .sgpr_count:     28
    .sgpr_spill_count: 0
    .symbol:         _ZN9rocsparseL19coomvn_atomic_loopsILj256ELj2El21rocsparse_complex_numIfES2_S2_S2_EEvlNS_24const_host_device_scalarIT5_EEPKT1_S8_PKT2_PKT3_PT4_21rocsparse_index_base_b.kd
    .uniform_work_group_size: 1
    .uses_dynamic_stack: false
    .vgpr_count:     26
    .vgpr_spill_count: 0
    .wavefront_size: 32
  - .args:
      - .offset:         0
        .size:           8
        .value_kind:     by_value
      - .offset:         8
        .size:           4
        .value_kind:     by_value
      - .offset:         16
        .size:           16
        .value_kind:     by_value
      - .actual_access:  read_only
        .address_space:  global
        .offset:         32
        .size:           8
        .value_kind:     global_buffer
      - .actual_access:  read_only
        .address_space:  global
        .offset:         40
        .size:           8
        .value_kind:     global_buffer
      - .actual_access:  read_only
        .address_space:  global
        .offset:         48
        .size:           8
        .value_kind:     global_buffer
      - .actual_access:  read_only
        .address_space:  global
        .offset:         56
        .size:           8
        .value_kind:     global_buffer
      - .address_space:  global
        .offset:         64
        .size:           8
        .value_kind:     global_buffer
      - .actual_access:  write_only
        .address_space:  global
        .offset:         72
        .size:           8
        .value_kind:     global_buffer
      - .actual_access:  write_only
        .address_space:  global
        .offset:         80
        .size:           8
        .value_kind:     global_buffer
      - .offset:         88
        .size:           4
        .value_kind:     by_value
      - .offset:         92
        .size:           1
        .value_kind:     by_value
    .group_segment_fixed_size: 5120
    .kernarg_segment_align: 8
    .kernarg_segment_size: 96
    .language:       OpenCL C
    .language_version:
      - 2
      - 0
    .max_flat_workgroup_size: 256
    .name:           _ZN9rocsparseL22coomvn_segmented_loopsILj256Ei21rocsparse_complex_numIdES2_S2_S2_EEvlT0_NS_24const_host_device_scalarIT4_EEPKS3_S8_PKT1_PKT2_PT3_PS3_PS5_21rocsparse_index_base_b
    .private_segment_fixed_size: 0
    .sgpr_count:     32
    .sgpr_spill_count: 0
    .symbol:         _ZN9rocsparseL22coomvn_segmented_loopsILj256Ei21rocsparse_complex_numIdES2_S2_S2_EEvlT0_NS_24const_host_device_scalarIT4_EEPKS3_S8_PKT1_PKT2_PT3_PS3_PS5_21rocsparse_index_base_b.kd
    .uniform_work_group_size: 1
    .uses_dynamic_stack: false
    .vgpr_count:     46
    .vgpr_spill_count: 0
    .wavefront_size: 32
  - .args:
      - .offset:         0
        .size:           4
        .value_kind:     by_value
      - .offset:         8
        .size:           16
        .value_kind:     by_value
      - .actual_access:  read_only
        .address_space:  global
        .offset:         24
        .size:           8
        .value_kind:     global_buffer
      - .actual_access:  read_only
        .address_space:  global
        .offset:         32
        .size:           8
        .value_kind:     global_buffer
      - .address_space:  global
        .offset:         40
        .size:           8
        .value_kind:     global_buffer
      - .offset:         48
        .size:           1
        .value_kind:     by_value
    .group_segment_fixed_size: 5120
    .kernarg_segment_align: 8
    .kernarg_segment_size: 52
    .language:       OpenCL C
    .language_version:
      - 2
      - 0
    .max_flat_workgroup_size: 256
    .name:           _ZN9rocsparseL29coomvn_segmented_loops_reduceILj256Ei21rocsparse_complex_numIdES2_EEvT0_NS_24const_host_device_scalarIT2_EEPKS3_PKS5_PT1_b
    .private_segment_fixed_size: 0
    .sgpr_count:     21
    .sgpr_spill_count: 0
    .symbol:         _ZN9rocsparseL29coomvn_segmented_loops_reduceILj256Ei21rocsparse_complex_numIdES2_EEvT0_NS_24const_host_device_scalarIT2_EEPKS3_PKS5_PT1_b.kd
    .uniform_work_group_size: 1
    .uses_dynamic_stack: false
    .vgpr_count:     32
    .vgpr_spill_count: 0
    .wavefront_size: 32
  - .args:
      - .offset:         0
        .size:           4
        .value_kind:     by_value
      - .offset:         8
        .size:           8
        .value_kind:     by_value
      - .offset:         16
        .size:           16
        .value_kind:     by_value
      - .actual_access:  read_only
        .address_space:  global
        .offset:         32
        .size:           8
        .value_kind:     global_buffer
      - .actual_access:  read_only
        .address_space:  global
        .offset:         40
        .size:           8
        .value_kind:     global_buffer
      - .actual_access:  read_only
        .address_space:  global
        .offset:         48
        .size:           8
        .value_kind:     global_buffer
      - .actual_access:  read_only
        .address_space:  global
        .offset:         56
        .size:           8
        .value_kind:     global_buffer
      - .address_space:  global
        .offset:         64
        .size:           8
        .value_kind:     global_buffer
      - .offset:         72
        .size:           4
        .value_kind:     by_value
      - .offset:         76
        .size:           1
        .value_kind:     by_value
      - .offset:         80
        .size:           4
        .value_kind:     hidden_block_count_x
      - .offset:         84
        .size:           4
        .value_kind:     hidden_block_count_y
      - .offset:         88
        .size:           4
        .value_kind:     hidden_block_count_z
      - .offset:         92
        .size:           2
        .value_kind:     hidden_group_size_x
      - .offset:         94
        .size:           2
        .value_kind:     hidden_group_size_y
      - .offset:         96
        .size:           2
        .value_kind:     hidden_group_size_z
      - .offset:         98
        .size:           2
        .value_kind:     hidden_remainder_x
      - .offset:         100
        .size:           2
        .value_kind:     hidden_remainder_y
      - .offset:         102
        .size:           2
        .value_kind:     hidden_remainder_z
      - .offset:         120
        .size:           8
        .value_kind:     hidden_global_offset_x
      - .offset:         128
        .size:           8
        .value_kind:     hidden_global_offset_y
      - .offset:         136
        .size:           8
        .value_kind:     hidden_global_offset_z
      - .offset:         144
        .size:           2
        .value_kind:     hidden_grid_dims
    .group_segment_fixed_size: 0
    .kernarg_segment_align: 8
    .kernarg_segment_size: 336
    .language:       OpenCL C
    .language_version:
      - 2
      - 0
    .max_flat_workgroup_size: 1024
    .name:           _ZN9rocsparseL13coomvt_kernelILj1024Ei21rocsparse_complex_numIdES2_S2_S2_EEv20rocsparse_operation_lNS_24const_host_device_scalarIT4_EEPKT0_S9_PKT1_PKT2_PT3_21rocsparse_index_base_b
    .private_segment_fixed_size: 0
    .sgpr_count:     22
    .sgpr_spill_count: 0
    .symbol:         _ZN9rocsparseL13coomvt_kernelILj1024Ei21rocsparse_complex_numIdES2_S2_S2_EEv20rocsparse_operation_lNS_24const_host_device_scalarIT4_EEPKT0_S9_PKT1_PKT2_PT3_21rocsparse_index_base_b.kd
    .uniform_work_group_size: 1
    .uses_dynamic_stack: false
    .vgpr_count:     16
    .vgpr_spill_count: 0
    .wavefront_size: 32
  - .args:
      - .offset:         0
        .size:           8
        .value_kind:     by_value
      - .offset:         8
        .size:           16
        .value_kind:     by_value
      - .actual_access:  read_only
        .address_space:  global
        .offset:         24
        .size:           8
        .value_kind:     global_buffer
      - .actual_access:  read_only
        .address_space:  global
        .offset:         32
        .size:           8
        .value_kind:     global_buffer
      - .actual_access:  read_only
        .address_space:  global
        .offset:         40
        .size:           8
        .value_kind:     global_buffer
      - .actual_access:  read_only
        .address_space:  global
        .offset:         48
        .size:           8
        .value_kind:     global_buffer
      - .address_space:  global
        .offset:         56
        .size:           8
        .value_kind:     global_buffer
      - .offset:         64
        .size:           4
        .value_kind:     by_value
      - .offset:         68
        .size:           1
        .value_kind:     by_value
    .group_segment_fixed_size: 5120
    .kernarg_segment_align: 8
    .kernarg_segment_size: 72
    .language:       OpenCL C
    .language_version:
      - 2
      - 0
    .max_flat_workgroup_size: 256
    .name:           _ZN9rocsparseL19coomvn_atomic_loopsILj256ELj1Ei21rocsparse_complex_numIdES2_S2_S2_EEvlNS_24const_host_device_scalarIT5_EEPKT1_S8_PKT2_PKT3_PT4_21rocsparse_index_base_b
    .private_segment_fixed_size: 0
    .sgpr_count:     22
    .sgpr_spill_count: 0
    .symbol:         _ZN9rocsparseL19coomvn_atomic_loopsILj256ELj1Ei21rocsparse_complex_numIdES2_S2_S2_EEvlNS_24const_host_device_scalarIT5_EEPKT1_S8_PKT2_PKT3_PT4_21rocsparse_index_base_b.kd
    .uniform_work_group_size: 1
    .uses_dynamic_stack: false
    .vgpr_count:     18
    .vgpr_spill_count: 0
    .wavefront_size: 32
  - .args:
      - .offset:         0
        .size:           8
        .value_kind:     by_value
      - .offset:         8
        .size:           16
        .value_kind:     by_value
      - .actual_access:  read_only
        .address_space:  global
        .offset:         24
        .size:           8
        .value_kind:     global_buffer
      - .actual_access:  read_only
        .address_space:  global
        .offset:         32
        .size:           8
        .value_kind:     global_buffer
      - .actual_access:  read_only
        .address_space:  global
        .offset:         40
        .size:           8
        .value_kind:     global_buffer
      - .actual_access:  read_only
        .address_space:  global
        .offset:         48
        .size:           8
        .value_kind:     global_buffer
      - .address_space:  global
        .offset:         56
        .size:           8
        .value_kind:     global_buffer
      - .offset:         64
        .size:           4
        .value_kind:     by_value
      - .offset:         68
        .size:           1
        .value_kind:     by_value
    .group_segment_fixed_size: 5120
    .kernarg_segment_align: 8
    .kernarg_segment_size: 72
    .language:       OpenCL C
    .language_version:
      - 2
      - 0
    .max_flat_workgroup_size: 256
    .name:           _ZN9rocsparseL19coomvn_atomic_loopsILj256ELj2Ei21rocsparse_complex_numIdES2_S2_S2_EEvlNS_24const_host_device_scalarIT5_EEPKT1_S8_PKT2_PKT3_PT4_21rocsparse_index_base_b
    .private_segment_fixed_size: 0
    .sgpr_count:     28
    .sgpr_spill_count: 0
    .symbol:         _ZN9rocsparseL19coomvn_atomic_loopsILj256ELj2Ei21rocsparse_complex_numIdES2_S2_S2_EEvlNS_24const_host_device_scalarIT5_EEPKT1_S8_PKT2_PKT3_PT4_21rocsparse_index_base_b.kd
    .uniform_work_group_size: 1
    .uses_dynamic_stack: false
    .vgpr_count:     38
    .vgpr_spill_count: 0
    .wavefront_size: 32
  - .args:
      - .offset:         0
        .size:           8
        .value_kind:     by_value
      - .offset:         8
        .size:           8
        .value_kind:     by_value
      - .offset:         16
        .size:           16
        .value_kind:     by_value
      - .actual_access:  read_only
        .address_space:  global
        .offset:         32
        .size:           8
        .value_kind:     global_buffer
      - .actual_access:  read_only
        .address_space:  global
        .offset:         40
        .size:           8
        .value_kind:     global_buffer
      - .actual_access:  read_only
        .address_space:  global
        .offset:         48
        .size:           8
        .value_kind:     global_buffer
      - .actual_access:  read_only
        .address_space:  global
        .offset:         56
        .size:           8
        .value_kind:     global_buffer
      - .address_space:  global
        .offset:         64
        .size:           8
        .value_kind:     global_buffer
      - .actual_access:  write_only
        .address_space:  global
        .offset:         72
        .size:           8
        .value_kind:     global_buffer
      - .actual_access:  write_only
        .address_space:  global
        .offset:         80
        .size:           8
        .value_kind:     global_buffer
      - .offset:         88
        .size:           4
        .value_kind:     by_value
      - .offset:         92
        .size:           1
        .value_kind:     by_value
    .group_segment_fixed_size: 6144
    .kernarg_segment_align: 8
    .kernarg_segment_size: 96
    .language:       OpenCL C
    .language_version:
      - 2
      - 0
    .max_flat_workgroup_size: 256
    .name:           _ZN9rocsparseL22coomvn_segmented_loopsILj256El21rocsparse_complex_numIdES2_S2_S2_EEvlT0_NS_24const_host_device_scalarIT4_EEPKS3_S8_PKT1_PKT2_PT3_PS3_PS5_21rocsparse_index_base_b
    .private_segment_fixed_size: 0
    .sgpr_count:     40
    .sgpr_spill_count: 0
    .symbol:         _ZN9rocsparseL22coomvn_segmented_loopsILj256El21rocsparse_complex_numIdES2_S2_S2_EEvlT0_NS_24const_host_device_scalarIT4_EEPKS3_S8_PKT1_PKT2_PT3_PS3_PS5_21rocsparse_index_base_b.kd
    .uniform_work_group_size: 1
    .uses_dynamic_stack: false
    .vgpr_count:     48
    .vgpr_spill_count: 0
    .wavefront_size: 32
  - .args:
      - .offset:         0
        .size:           8
        .value_kind:     by_value
      - .offset:         8
        .size:           16
        .value_kind:     by_value
      - .actual_access:  read_only
        .address_space:  global
        .offset:         24
        .size:           8
        .value_kind:     global_buffer
      - .actual_access:  read_only
        .address_space:  global
        .offset:         32
        .size:           8
        .value_kind:     global_buffer
      - .address_space:  global
        .offset:         40
        .size:           8
        .value_kind:     global_buffer
      - .offset:         48
        .size:           1
        .value_kind:     by_value
    .group_segment_fixed_size: 6144
    .kernarg_segment_align: 8
    .kernarg_segment_size: 52
    .language:       OpenCL C
    .language_version:
      - 2
      - 0
    .max_flat_workgroup_size: 256
    .name:           _ZN9rocsparseL29coomvn_segmented_loops_reduceILj256El21rocsparse_complex_numIdES2_EEvT0_NS_24const_host_device_scalarIT2_EEPKS3_PKS5_PT1_b
    .private_segment_fixed_size: 0
    .sgpr_count:     20
    .sgpr_spill_count: 0
    .symbol:         _ZN9rocsparseL29coomvn_segmented_loops_reduceILj256El21rocsparse_complex_numIdES2_EEvT0_NS_24const_host_device_scalarIT2_EEPKS3_PKS5_PT1_b.kd
    .uniform_work_group_size: 1
    .uses_dynamic_stack: false
    .vgpr_count:     38
    .vgpr_spill_count: 0
    .wavefront_size: 32
  - .args:
      - .offset:         0
        .size:           4
        .value_kind:     by_value
      - .offset:         8
        .size:           8
        .value_kind:     by_value
      - .offset:         16
        .size:           16
        .value_kind:     by_value
      - .actual_access:  read_only
        .address_space:  global
        .offset:         32
        .size:           8
        .value_kind:     global_buffer
      - .actual_access:  read_only
        .address_space:  global
        .offset:         40
        .size:           8
        .value_kind:     global_buffer
      - .actual_access:  read_only
        .address_space:  global
        .offset:         48
        .size:           8
        .value_kind:     global_buffer
      - .actual_access:  read_only
        .address_space:  global
        .offset:         56
        .size:           8
        .value_kind:     global_buffer
      - .address_space:  global
        .offset:         64
        .size:           8
        .value_kind:     global_buffer
      - .offset:         72
        .size:           4
        .value_kind:     by_value
      - .offset:         76
        .size:           1
        .value_kind:     by_value
      - .offset:         80
        .size:           4
        .value_kind:     hidden_block_count_x
      - .offset:         84
        .size:           4
        .value_kind:     hidden_block_count_y
      - .offset:         88
        .size:           4
        .value_kind:     hidden_block_count_z
      - .offset:         92
        .size:           2
        .value_kind:     hidden_group_size_x
      - .offset:         94
        .size:           2
        .value_kind:     hidden_group_size_y
      - .offset:         96
        .size:           2
        .value_kind:     hidden_group_size_z
      - .offset:         98
        .size:           2
        .value_kind:     hidden_remainder_x
      - .offset:         100
        .size:           2
        .value_kind:     hidden_remainder_y
      - .offset:         102
        .size:           2
        .value_kind:     hidden_remainder_z
      - .offset:         120
        .size:           8
        .value_kind:     hidden_global_offset_x
      - .offset:         128
        .size:           8
        .value_kind:     hidden_global_offset_y
      - .offset:         136
        .size:           8
        .value_kind:     hidden_global_offset_z
      - .offset:         144
        .size:           2
        .value_kind:     hidden_grid_dims
    .group_segment_fixed_size: 0
    .kernarg_segment_align: 8
    .kernarg_segment_size: 336
    .language:       OpenCL C
    .language_version:
      - 2
      - 0
    .max_flat_workgroup_size: 1024
    .name:           _ZN9rocsparseL13coomvt_kernelILj1024El21rocsparse_complex_numIdES2_S2_S2_EEv20rocsparse_operation_lNS_24const_host_device_scalarIT4_EEPKT0_S9_PKT1_PKT2_PT3_21rocsparse_index_base_b
    .private_segment_fixed_size: 0
    .sgpr_count:     22
    .sgpr_spill_count: 0
    .symbol:         _ZN9rocsparseL13coomvt_kernelILj1024El21rocsparse_complex_numIdES2_S2_S2_EEv20rocsparse_operation_lNS_24const_host_device_scalarIT4_EEPKT0_S9_PKT1_PKT2_PT3_21rocsparse_index_base_b.kd
    .uniform_work_group_size: 1
    .uses_dynamic_stack: false
    .vgpr_count:     16
    .vgpr_spill_count: 0
    .wavefront_size: 32
  - .args:
      - .offset:         0
        .size:           8
        .value_kind:     by_value
      - .offset:         8
        .size:           16
        .value_kind:     by_value
      - .actual_access:  read_only
        .address_space:  global
        .offset:         24
        .size:           8
        .value_kind:     global_buffer
      - .actual_access:  read_only
        .address_space:  global
        .offset:         32
        .size:           8
        .value_kind:     global_buffer
      - .actual_access:  read_only
        .address_space:  global
        .offset:         40
        .size:           8
        .value_kind:     global_buffer
      - .actual_access:  read_only
        .address_space:  global
        .offset:         48
        .size:           8
        .value_kind:     global_buffer
      - .address_space:  global
        .offset:         56
        .size:           8
        .value_kind:     global_buffer
      - .offset:         64
        .size:           4
        .value_kind:     by_value
      - .offset:         68
        .size:           1
        .value_kind:     by_value
    .group_segment_fixed_size: 6144
    .kernarg_segment_align: 8
    .kernarg_segment_size: 72
    .language:       OpenCL C
    .language_version:
      - 2
      - 0
    .max_flat_workgroup_size: 256
    .name:           _ZN9rocsparseL19coomvn_atomic_loopsILj256ELj1El21rocsparse_complex_numIdES2_S2_S2_EEvlNS_24const_host_device_scalarIT5_EEPKT1_S8_PKT2_PKT3_PT4_21rocsparse_index_base_b
    .private_segment_fixed_size: 0
    .sgpr_count:     22
    .sgpr_spill_count: 0
    .symbol:         _ZN9rocsparseL19coomvn_atomic_loopsILj256ELj1El21rocsparse_complex_numIdES2_S2_S2_EEvlNS_24const_host_device_scalarIT5_EEPKT1_S8_PKT2_PKT3_PT4_21rocsparse_index_base_b.kd
    .uniform_work_group_size: 1
    .uses_dynamic_stack: false
    .vgpr_count:     20
    .vgpr_spill_count: 0
    .wavefront_size: 32
  - .args:
      - .offset:         0
        .size:           8
        .value_kind:     by_value
      - .offset:         8
        .size:           16
        .value_kind:     by_value
      - .actual_access:  read_only
        .address_space:  global
        .offset:         24
        .size:           8
        .value_kind:     global_buffer
      - .actual_access:  read_only
        .address_space:  global
        .offset:         32
        .size:           8
        .value_kind:     global_buffer
      - .actual_access:  read_only
        .address_space:  global
        .offset:         40
        .size:           8
        .value_kind:     global_buffer
      - .actual_access:  read_only
        .address_space:  global
        .offset:         48
        .size:           8
        .value_kind:     global_buffer
      - .address_space:  global
        .offset:         56
        .size:           8
        .value_kind:     global_buffer
      - .offset:         64
        .size:           4
        .value_kind:     by_value
      - .offset:         68
        .size:           1
        .value_kind:     by_value
    .group_segment_fixed_size: 6144
    .kernarg_segment_align: 8
    .kernarg_segment_size: 72
    .language:       OpenCL C
    .language_version:
      - 2
      - 0
    .max_flat_workgroup_size: 256
    .name:           _ZN9rocsparseL19coomvn_atomic_loopsILj256ELj2El21rocsparse_complex_numIdES2_S2_S2_EEvlNS_24const_host_device_scalarIT5_EEPKT1_S8_PKT2_PKT3_PT4_21rocsparse_index_base_b
    .private_segment_fixed_size: 0
    .sgpr_count:     28
    .sgpr_spill_count: 0
    .symbol:         _ZN9rocsparseL19coomvn_atomic_loopsILj256ELj2El21rocsparse_complex_numIdES2_S2_S2_EEvlNS_24const_host_device_scalarIT5_EEPKT1_S8_PKT2_PKT3_PT4_21rocsparse_index_base_b.kd
    .uniform_work_group_size: 1
    .uses_dynamic_stack: false
    .vgpr_count:     36
    .vgpr_spill_count: 0
    .wavefront_size: 32
  - .args:
      - .offset:         0
        .size:           8
        .value_kind:     by_value
      - .offset:         8
        .size:           4
        .value_kind:     by_value
      - .offset:         16
        .size:           8
        .value_kind:     by_value
      - .actual_access:  read_only
        .address_space:  global
        .offset:         24
        .size:           8
        .value_kind:     global_buffer
      - .actual_access:  read_only
        .address_space:  global
        .offset:         32
        .size:           8
        .value_kind:     global_buffer
      - .actual_access:  read_only
        .address_space:  global
        .offset:         40
        .size:           8
        .value_kind:     global_buffer
      - .actual_access:  read_only
        .address_space:  global
        .offset:         48
        .size:           8
        .value_kind:     global_buffer
      - .address_space:  global
        .offset:         56
        .size:           8
        .value_kind:     global_buffer
      - .actual_access:  write_only
        .address_space:  global
        .offset:         64
        .size:           8
        .value_kind:     global_buffer
      - .actual_access:  write_only
        .address_space:  global
        .offset:         72
        .size:           8
        .value_kind:     global_buffer
      - .offset:         80
        .size:           4
        .value_kind:     by_value
      - .offset:         84
        .size:           1
        .value_kind:     by_value
    .group_segment_fixed_size: 2048
    .kernarg_segment_align: 8
    .kernarg_segment_size: 88
    .language:       OpenCL C
    .language_version:
      - 2
      - 0
    .max_flat_workgroup_size: 256
    .name:           _ZN9rocsparseL22coomvn_segmented_loopsILj256EiaaiiEEvlT0_NS_24const_host_device_scalarIT4_EEPKS1_S6_PKT1_PKT2_PT3_PS1_PS3_21rocsparse_index_base_b
    .private_segment_fixed_size: 0
    .sgpr_count:     36
    .sgpr_spill_count: 0
    .symbol:         _ZN9rocsparseL22coomvn_segmented_loopsILj256EiaaiiEEvlT0_NS_24const_host_device_scalarIT4_EEPKS1_S6_PKT1_PKT2_PT3_PS1_PS3_21rocsparse_index_base_b.kd
    .uniform_work_group_size: 1
    .uses_dynamic_stack: false
    .vgpr_count:     32
    .vgpr_spill_count: 0
    .wavefront_size: 32
  - .args:
      - .offset:         0
        .size:           4
        .value_kind:     by_value
      - .offset:         8
        .size:           8
        .value_kind:     by_value
      - .actual_access:  read_only
        .address_space:  global
        .offset:         16
        .size:           8
        .value_kind:     global_buffer
      - .actual_access:  read_only
        .address_space:  global
        .offset:         24
        .size:           8
        .value_kind:     global_buffer
      - .address_space:  global
        .offset:         32
        .size:           8
        .value_kind:     global_buffer
      - .offset:         40
        .size:           1
        .value_kind:     by_value
    .group_segment_fixed_size: 2048
    .kernarg_segment_align: 8
    .kernarg_segment_size: 44
    .language:       OpenCL C
    .language_version:
      - 2
      - 0
    .max_flat_workgroup_size: 256
    .name:           _ZN9rocsparseL29coomvn_segmented_loops_reduceILj256EiiiEEvT0_NS_24const_host_device_scalarIT2_EEPKS1_PKS3_PT1_b
    .private_segment_fixed_size: 0
    .sgpr_count:     21
    .sgpr_spill_count: 0
    .symbol:         _ZN9rocsparseL29coomvn_segmented_loops_reduceILj256EiiiEEvT0_NS_24const_host_device_scalarIT2_EEPKS1_PKS3_PT1_b.kd
    .uniform_work_group_size: 1
    .uses_dynamic_stack: false
    .vgpr_count:     23
    .vgpr_spill_count: 0
    .wavefront_size: 32
  - .args:
      - .offset:         0
        .size:           4
        .value_kind:     by_value
      - .offset:         8
        .size:           8
        .value_kind:     by_value
      - .offset:         16
        .size:           8
        .value_kind:     by_value
      - .actual_access:  read_only
        .address_space:  global
        .offset:         24
        .size:           8
        .value_kind:     global_buffer
      - .actual_access:  read_only
        .address_space:  global
        .offset:         32
        .size:           8
        .value_kind:     global_buffer
      - .actual_access:  read_only
        .address_space:  global
        .offset:         40
        .size:           8
        .value_kind:     global_buffer
      - .actual_access:  read_only
        .address_space:  global
        .offset:         48
        .size:           8
        .value_kind:     global_buffer
      - .address_space:  global
        .offset:         56
        .size:           8
        .value_kind:     global_buffer
      - .offset:         64
        .size:           4
        .value_kind:     by_value
      - .offset:         68
        .size:           1
        .value_kind:     by_value
      - .offset:         72
        .size:           4
        .value_kind:     hidden_block_count_x
      - .offset:         76
        .size:           4
        .value_kind:     hidden_block_count_y
      - .offset:         80
        .size:           4
        .value_kind:     hidden_block_count_z
      - .offset:         84
        .size:           2
        .value_kind:     hidden_group_size_x
      - .offset:         86
        .size:           2
        .value_kind:     hidden_group_size_y
      - .offset:         88
        .size:           2
        .value_kind:     hidden_group_size_z
      - .offset:         90
        .size:           2
        .value_kind:     hidden_remainder_x
      - .offset:         92
        .size:           2
        .value_kind:     hidden_remainder_y
      - .offset:         94
        .size:           2
        .value_kind:     hidden_remainder_z
      - .offset:         112
        .size:           8
        .value_kind:     hidden_global_offset_x
      - .offset:         120
        .size:           8
        .value_kind:     hidden_global_offset_y
      - .offset:         128
        .size:           8
        .value_kind:     hidden_global_offset_z
      - .offset:         136
        .size:           2
        .value_kind:     hidden_grid_dims
    .group_segment_fixed_size: 0
    .kernarg_segment_align: 8
    .kernarg_segment_size: 328
    .language:       OpenCL C
    .language_version:
      - 2
      - 0
    .max_flat_workgroup_size: 1024
    .name:           _ZN9rocsparseL13coomvt_kernelILj1024EiaaiiEEv20rocsparse_operation_lNS_24const_host_device_scalarIT4_EEPKT0_S7_PKT1_PKT2_PT3_21rocsparse_index_base_b
    .private_segment_fixed_size: 0
    .sgpr_count:     14
    .sgpr_spill_count: 0
    .symbol:         _ZN9rocsparseL13coomvt_kernelILj1024EiaaiiEEv20rocsparse_operation_lNS_24const_host_device_scalarIT4_EEPKT0_S7_PKT1_PKT2_PT3_21rocsparse_index_base_b.kd
    .uniform_work_group_size: 1
    .uses_dynamic_stack: false
    .vgpr_count:     6
    .vgpr_spill_count: 0
    .wavefront_size: 32
  - .args:
      - .offset:         0
        .size:           8
        .value_kind:     by_value
      - .offset:         8
        .size:           8
        .value_kind:     by_value
      - .actual_access:  read_only
        .address_space:  global
        .offset:         16
        .size:           8
        .value_kind:     global_buffer
      - .actual_access:  read_only
        .address_space:  global
        .offset:         24
        .size:           8
        .value_kind:     global_buffer
      - .actual_access:  read_only
        .address_space:  global
        .offset:         32
        .size:           8
        .value_kind:     global_buffer
      - .actual_access:  read_only
        .address_space:  global
        .offset:         40
        .size:           8
        .value_kind:     global_buffer
      - .address_space:  global
        .offset:         48
        .size:           8
        .value_kind:     global_buffer
      - .offset:         56
        .size:           4
        .value_kind:     by_value
      - .offset:         60
        .size:           1
        .value_kind:     by_value
    .group_segment_fixed_size: 2048
    .kernarg_segment_align: 8
    .kernarg_segment_size: 64
    .language:       OpenCL C
    .language_version:
      - 2
      - 0
    .max_flat_workgroup_size: 256
    .name:           _ZN9rocsparseL19coomvn_atomic_loopsILj256ELj1EiaaiiEEvlNS_24const_host_device_scalarIT5_EEPKT1_S6_PKT2_PKT3_PT4_21rocsparse_index_base_b
    .private_segment_fixed_size: 0
    .sgpr_count:     18
    .sgpr_spill_count: 0
    .symbol:         _ZN9rocsparseL19coomvn_atomic_loopsILj256ELj1EiaaiiEEvlNS_24const_host_device_scalarIT5_EEPKT1_S6_PKT2_PKT3_PT4_21rocsparse_index_base_b.kd
    .uniform_work_group_size: 1
    .uses_dynamic_stack: false
    .vgpr_count:     9
    .vgpr_spill_count: 0
    .wavefront_size: 32
  - .args:
      - .offset:         0
        .size:           8
        .value_kind:     by_value
      - .offset:         8
        .size:           8
        .value_kind:     by_value
      - .actual_access:  read_only
        .address_space:  global
        .offset:         16
        .size:           8
        .value_kind:     global_buffer
      - .actual_access:  read_only
        .address_space:  global
        .offset:         24
        .size:           8
        .value_kind:     global_buffer
      - .actual_access:  read_only
        .address_space:  global
        .offset:         32
        .size:           8
        .value_kind:     global_buffer
      - .actual_access:  read_only
        .address_space:  global
        .offset:         40
        .size:           8
        .value_kind:     global_buffer
      - .address_space:  global
        .offset:         48
        .size:           8
        .value_kind:     global_buffer
      - .offset:         56
        .size:           4
        .value_kind:     by_value
      - .offset:         60
        .size:           1
        .value_kind:     by_value
    .group_segment_fixed_size: 2048
    .kernarg_segment_align: 8
    .kernarg_segment_size: 64
    .language:       OpenCL C
    .language_version:
      - 2
      - 0
    .max_flat_workgroup_size: 256
    .name:           _ZN9rocsparseL19coomvn_atomic_loopsILj256ELj2EiaaiiEEvlNS_24const_host_device_scalarIT5_EEPKT1_S6_PKT2_PKT3_PT4_21rocsparse_index_base_b
    .private_segment_fixed_size: 0
    .sgpr_count:     28
    .sgpr_spill_count: 0
    .symbol:         _ZN9rocsparseL19coomvn_atomic_loopsILj256ELj2EiaaiiEEvlNS_24const_host_device_scalarIT5_EEPKT1_S6_PKT2_PKT3_PT4_21rocsparse_index_base_b.kd
    .uniform_work_group_size: 1
    .uses_dynamic_stack: false
    .vgpr_count:     20
    .vgpr_spill_count: 0
    .wavefront_size: 32
  - .args:
      - .offset:         0
        .size:           8
        .value_kind:     by_value
      - .offset:         8
        .size:           8
        .value_kind:     by_value
      - .offset:         16
        .size:           8
        .value_kind:     by_value
      - .actual_access:  read_only
        .address_space:  global
        .offset:         24
        .size:           8
        .value_kind:     global_buffer
      - .actual_access:  read_only
        .address_space:  global
        .offset:         32
        .size:           8
        .value_kind:     global_buffer
      - .actual_access:  read_only
        .address_space:  global
        .offset:         40
        .size:           8
        .value_kind:     global_buffer
      - .actual_access:  read_only
        .address_space:  global
        .offset:         48
        .size:           8
        .value_kind:     global_buffer
      - .address_space:  global
        .offset:         56
        .size:           8
        .value_kind:     global_buffer
      - .actual_access:  write_only
        .address_space:  global
        .offset:         64
        .size:           8
        .value_kind:     global_buffer
      - .actual_access:  write_only
        .address_space:  global
        .offset:         72
        .size:           8
        .value_kind:     global_buffer
      - .offset:         80
        .size:           4
        .value_kind:     by_value
      - .offset:         84
        .size:           1
        .value_kind:     by_value
    .group_segment_fixed_size: 3072
    .kernarg_segment_align: 8
    .kernarg_segment_size: 88
    .language:       OpenCL C
    .language_version:
      - 2
      - 0
    .max_flat_workgroup_size: 256
    .name:           _ZN9rocsparseL22coomvn_segmented_loopsILj256ElaaiiEEvlT0_NS_24const_host_device_scalarIT4_EEPKS1_S6_PKT1_PKT2_PT3_PS1_PS3_21rocsparse_index_base_b
    .private_segment_fixed_size: 0
    .sgpr_count:     38
    .sgpr_spill_count: 0
    .symbol:         _ZN9rocsparseL22coomvn_segmented_loopsILj256ElaaiiEEvlT0_NS_24const_host_device_scalarIT4_EEPKS1_S6_PKT1_PKT2_PT3_PS1_PS3_21rocsparse_index_base_b.kd
    .uniform_work_group_size: 1
    .uses_dynamic_stack: false
    .vgpr_count:     34
    .vgpr_spill_count: 0
    .wavefront_size: 32
  - .args:
      - .offset:         0
        .size:           8
        .value_kind:     by_value
      - .offset:         8
        .size:           8
        .value_kind:     by_value
      - .actual_access:  read_only
        .address_space:  global
        .offset:         16
        .size:           8
        .value_kind:     global_buffer
      - .actual_access:  read_only
        .address_space:  global
        .offset:         24
        .size:           8
        .value_kind:     global_buffer
      - .address_space:  global
        .offset:         32
        .size:           8
        .value_kind:     global_buffer
      - .offset:         40
        .size:           1
        .value_kind:     by_value
    .group_segment_fixed_size: 3072
    .kernarg_segment_align: 8
    .kernarg_segment_size: 44
    .language:       OpenCL C
    .language_version:
      - 2
      - 0
    .max_flat_workgroup_size: 256
    .name:           _ZN9rocsparseL29coomvn_segmented_loops_reduceILj256EliiEEvT0_NS_24const_host_device_scalarIT2_EEPKS1_PKS3_PT1_b
    .private_segment_fixed_size: 0
    .sgpr_count:     20
    .sgpr_spill_count: 0
    .symbol:         _ZN9rocsparseL29coomvn_segmented_loops_reduceILj256EliiEEvT0_NS_24const_host_device_scalarIT2_EEPKS1_PKS3_PT1_b.kd
    .uniform_work_group_size: 1
    .uses_dynamic_stack: false
    .vgpr_count:     32
    .vgpr_spill_count: 0
    .wavefront_size: 32
  - .args:
      - .offset:         0
        .size:           4
        .value_kind:     by_value
      - .offset:         8
        .size:           8
        .value_kind:     by_value
      - .offset:         16
        .size:           8
        .value_kind:     by_value
      - .actual_access:  read_only
        .address_space:  global
        .offset:         24
        .size:           8
        .value_kind:     global_buffer
      - .actual_access:  read_only
        .address_space:  global
        .offset:         32
        .size:           8
        .value_kind:     global_buffer
      - .actual_access:  read_only
        .address_space:  global
        .offset:         40
        .size:           8
        .value_kind:     global_buffer
      - .actual_access:  read_only
        .address_space:  global
        .offset:         48
        .size:           8
        .value_kind:     global_buffer
      - .address_space:  global
        .offset:         56
        .size:           8
        .value_kind:     global_buffer
      - .offset:         64
        .size:           4
        .value_kind:     by_value
      - .offset:         68
        .size:           1
        .value_kind:     by_value
      - .offset:         72
        .size:           4
        .value_kind:     hidden_block_count_x
      - .offset:         76
        .size:           4
        .value_kind:     hidden_block_count_y
      - .offset:         80
        .size:           4
        .value_kind:     hidden_block_count_z
      - .offset:         84
        .size:           2
        .value_kind:     hidden_group_size_x
      - .offset:         86
        .size:           2
        .value_kind:     hidden_group_size_y
      - .offset:         88
        .size:           2
        .value_kind:     hidden_group_size_z
      - .offset:         90
        .size:           2
        .value_kind:     hidden_remainder_x
      - .offset:         92
        .size:           2
        .value_kind:     hidden_remainder_y
      - .offset:         94
        .size:           2
        .value_kind:     hidden_remainder_z
      - .offset:         112
        .size:           8
        .value_kind:     hidden_global_offset_x
      - .offset:         120
        .size:           8
        .value_kind:     hidden_global_offset_y
      - .offset:         128
        .size:           8
        .value_kind:     hidden_global_offset_z
      - .offset:         136
        .size:           2
        .value_kind:     hidden_grid_dims
    .group_segment_fixed_size: 0
    .kernarg_segment_align: 8
    .kernarg_segment_size: 328
    .language:       OpenCL C
    .language_version:
      - 2
      - 0
    .max_flat_workgroup_size: 1024
    .name:           _ZN9rocsparseL13coomvt_kernelILj1024ElaaiiEEv20rocsparse_operation_lNS_24const_host_device_scalarIT4_EEPKT0_S7_PKT1_PKT2_PT3_21rocsparse_index_base_b
    .private_segment_fixed_size: 0
    .sgpr_count:     18
    .sgpr_spill_count: 0
    .symbol:         _ZN9rocsparseL13coomvt_kernelILj1024ElaaiiEEv20rocsparse_operation_lNS_24const_host_device_scalarIT4_EEPKT0_S7_PKT1_PKT2_PT3_21rocsparse_index_base_b.kd
    .uniform_work_group_size: 1
    .uses_dynamic_stack: false
    .vgpr_count:     8
    .vgpr_spill_count: 0
    .wavefront_size: 32
  - .args:
      - .offset:         0
        .size:           8
        .value_kind:     by_value
      - .offset:         8
        .size:           8
        .value_kind:     by_value
      - .actual_access:  read_only
        .address_space:  global
        .offset:         16
        .size:           8
        .value_kind:     global_buffer
      - .actual_access:  read_only
        .address_space:  global
        .offset:         24
        .size:           8
        .value_kind:     global_buffer
      - .actual_access:  read_only
        .address_space:  global
        .offset:         32
        .size:           8
        .value_kind:     global_buffer
      - .actual_access:  read_only
        .address_space:  global
        .offset:         40
        .size:           8
        .value_kind:     global_buffer
      - .address_space:  global
        .offset:         48
        .size:           8
        .value_kind:     global_buffer
      - .offset:         56
        .size:           4
        .value_kind:     by_value
      - .offset:         60
        .size:           1
        .value_kind:     by_value
    .group_segment_fixed_size: 3072
    .kernarg_segment_align: 8
    .kernarg_segment_size: 64
    .language:       OpenCL C
    .language_version:
      - 2
      - 0
    .max_flat_workgroup_size: 256
    .name:           _ZN9rocsparseL19coomvn_atomic_loopsILj256ELj1ElaaiiEEvlNS_24const_host_device_scalarIT5_EEPKT1_S6_PKT2_PKT3_PT4_21rocsparse_index_base_b
    .private_segment_fixed_size: 0
    .sgpr_count:     18
    .sgpr_spill_count: 0
    .symbol:         _ZN9rocsparseL19coomvn_atomic_loopsILj256ELj1ElaaiiEEvlNS_24const_host_device_scalarIT5_EEPKT1_S6_PKT2_PKT3_PT4_21rocsparse_index_base_b.kd
    .uniform_work_group_size: 1
    .uses_dynamic_stack: false
    .vgpr_count:     11
    .vgpr_spill_count: 0
    .wavefront_size: 32
  - .args:
      - .offset:         0
        .size:           8
        .value_kind:     by_value
      - .offset:         8
        .size:           8
        .value_kind:     by_value
      - .actual_access:  read_only
        .address_space:  global
        .offset:         16
        .size:           8
        .value_kind:     global_buffer
      - .actual_access:  read_only
        .address_space:  global
        .offset:         24
        .size:           8
        .value_kind:     global_buffer
      - .actual_access:  read_only
        .address_space:  global
        .offset:         32
        .size:           8
        .value_kind:     global_buffer
      - .actual_access:  read_only
        .address_space:  global
        .offset:         40
        .size:           8
        .value_kind:     global_buffer
      - .address_space:  global
        .offset:         48
        .size:           8
        .value_kind:     global_buffer
      - .offset:         56
        .size:           4
        .value_kind:     by_value
      - .offset:         60
        .size:           1
        .value_kind:     by_value
    .group_segment_fixed_size: 3072
    .kernarg_segment_align: 8
    .kernarg_segment_size: 64
    .language:       OpenCL C
    .language_version:
      - 2
      - 0
    .max_flat_workgroup_size: 256
    .name:           _ZN9rocsparseL19coomvn_atomic_loopsILj256ELj2ElaaiiEEvlNS_24const_host_device_scalarIT5_EEPKT1_S6_PKT2_PKT3_PT4_21rocsparse_index_base_b
    .private_segment_fixed_size: 0
    .sgpr_count:     28
    .sgpr_spill_count: 0
    .symbol:         _ZN9rocsparseL19coomvn_atomic_loopsILj256ELj2ElaaiiEEvlNS_24const_host_device_scalarIT5_EEPKT1_S6_PKT2_PKT3_PT4_21rocsparse_index_base_b.kd
    .uniform_work_group_size: 1
    .uses_dynamic_stack: false
    .vgpr_count:     22
    .vgpr_spill_count: 0
    .wavefront_size: 32
  - .args:
      - .offset:         0
        .size:           8
        .value_kind:     by_value
      - .offset:         8
        .size:           4
        .value_kind:     by_value
      - .offset:         16
        .size:           8
        .value_kind:     by_value
      - .actual_access:  read_only
        .address_space:  global
        .offset:         24
        .size:           8
        .value_kind:     global_buffer
      - .actual_access:  read_only
        .address_space:  global
        .offset:         32
        .size:           8
        .value_kind:     global_buffer
      - .actual_access:  read_only
        .address_space:  global
        .offset:         40
        .size:           8
        .value_kind:     global_buffer
      - .actual_access:  read_only
        .address_space:  global
        .offset:         48
        .size:           8
        .value_kind:     global_buffer
      - .address_space:  global
        .offset:         56
        .size:           8
        .value_kind:     global_buffer
      - .actual_access:  write_only
        .address_space:  global
        .offset:         64
        .size:           8
        .value_kind:     global_buffer
      - .actual_access:  write_only
        .address_space:  global
        .offset:         72
        .size:           8
        .value_kind:     global_buffer
      - .offset:         80
        .size:           4
        .value_kind:     by_value
      - .offset:         84
        .size:           1
        .value_kind:     by_value
    .group_segment_fixed_size: 2048
    .kernarg_segment_align: 8
    .kernarg_segment_size: 88
    .language:       OpenCL C
    .language_version:
      - 2
      - 0
    .max_flat_workgroup_size: 256
    .name:           _ZN9rocsparseL22coomvn_segmented_loopsILj256EiaaffEEvlT0_NS_24const_host_device_scalarIT4_EEPKS1_S6_PKT1_PKT2_PT3_PS1_PS3_21rocsparse_index_base_b
    .private_segment_fixed_size: 0
    .sgpr_count:     38
    .sgpr_spill_count: 0
    .symbol:         _ZN9rocsparseL22coomvn_segmented_loopsILj256EiaaffEEvlT0_NS_24const_host_device_scalarIT4_EEPKS1_S6_PKT1_PKT2_PT3_PS1_PS3_21rocsparse_index_base_b.kd
    .uniform_work_group_size: 1
    .uses_dynamic_stack: false
    .vgpr_count:     32
    .vgpr_spill_count: 0
    .wavefront_size: 32
  - .args:
      - .offset:         0
        .size:           4
        .value_kind:     by_value
      - .offset:         8
        .size:           8
        .value_kind:     by_value
      - .offset:         16
        .size:           8
        .value_kind:     by_value
      - .actual_access:  read_only
        .address_space:  global
        .offset:         24
        .size:           8
        .value_kind:     global_buffer
      - .actual_access:  read_only
        .address_space:  global
        .offset:         32
        .size:           8
        .value_kind:     global_buffer
      - .actual_access:  read_only
        .address_space:  global
        .offset:         40
        .size:           8
        .value_kind:     global_buffer
      - .actual_access:  read_only
        .address_space:  global
        .offset:         48
        .size:           8
        .value_kind:     global_buffer
      - .address_space:  global
        .offset:         56
        .size:           8
        .value_kind:     global_buffer
      - .offset:         64
        .size:           4
        .value_kind:     by_value
      - .offset:         68
        .size:           1
        .value_kind:     by_value
      - .offset:         72
        .size:           4
        .value_kind:     hidden_block_count_x
      - .offset:         76
        .size:           4
        .value_kind:     hidden_block_count_y
      - .offset:         80
        .size:           4
        .value_kind:     hidden_block_count_z
      - .offset:         84
        .size:           2
        .value_kind:     hidden_group_size_x
      - .offset:         86
        .size:           2
        .value_kind:     hidden_group_size_y
      - .offset:         88
        .size:           2
        .value_kind:     hidden_group_size_z
      - .offset:         90
        .size:           2
        .value_kind:     hidden_remainder_x
      - .offset:         92
        .size:           2
        .value_kind:     hidden_remainder_y
      - .offset:         94
        .size:           2
        .value_kind:     hidden_remainder_z
      - .offset:         112
        .size:           8
        .value_kind:     hidden_global_offset_x
      - .offset:         120
        .size:           8
        .value_kind:     hidden_global_offset_y
      - .offset:         128
        .size:           8
        .value_kind:     hidden_global_offset_z
      - .offset:         136
        .size:           2
        .value_kind:     hidden_grid_dims
    .group_segment_fixed_size: 0
    .kernarg_segment_align: 8
    .kernarg_segment_size: 328
    .language:       OpenCL C
    .language_version:
      - 2
      - 0
    .max_flat_workgroup_size: 1024
    .name:           _ZN9rocsparseL13coomvt_kernelILj1024EiaaffEEv20rocsparse_operation_lNS_24const_host_device_scalarIT4_EEPKT0_S7_PKT1_PKT2_PT3_21rocsparse_index_base_b
    .private_segment_fixed_size: 0
    .sgpr_count:     18
    .sgpr_spill_count: 0
    .symbol:         _ZN9rocsparseL13coomvt_kernelILj1024EiaaffEEv20rocsparse_operation_lNS_24const_host_device_scalarIT4_EEPKT0_S7_PKT1_PKT2_PT3_21rocsparse_index_base_b.kd
    .uniform_work_group_size: 1
    .uses_dynamic_stack: false
    .vgpr_count:     6
    .vgpr_spill_count: 0
    .wavefront_size: 32
  - .args:
      - .offset:         0
        .size:           8
        .value_kind:     by_value
      - .offset:         8
        .size:           8
        .value_kind:     by_value
      - .actual_access:  read_only
        .address_space:  global
        .offset:         16
        .size:           8
        .value_kind:     global_buffer
      - .actual_access:  read_only
        .address_space:  global
        .offset:         24
        .size:           8
        .value_kind:     global_buffer
      - .actual_access:  read_only
        .address_space:  global
        .offset:         32
        .size:           8
        .value_kind:     global_buffer
      - .actual_access:  read_only
        .address_space:  global
        .offset:         40
        .size:           8
        .value_kind:     global_buffer
      - .address_space:  global
        .offset:         48
        .size:           8
        .value_kind:     global_buffer
      - .offset:         56
        .size:           4
        .value_kind:     by_value
      - .offset:         60
        .size:           1
        .value_kind:     by_value
    .group_segment_fixed_size: 2048
    .kernarg_segment_align: 8
    .kernarg_segment_size: 64
    .language:       OpenCL C
    .language_version:
      - 2
      - 0
    .max_flat_workgroup_size: 256
    .name:           _ZN9rocsparseL19coomvn_atomic_loopsILj256ELj1EiaaffEEvlNS_24const_host_device_scalarIT5_EEPKT1_S6_PKT2_PKT3_PT4_21rocsparse_index_base_b
    .private_segment_fixed_size: 0
    .sgpr_count:     18
    .sgpr_spill_count: 0
    .symbol:         _ZN9rocsparseL19coomvn_atomic_loopsILj256ELj1EiaaffEEvlNS_24const_host_device_scalarIT5_EEPKT1_S6_PKT2_PKT3_PT4_21rocsparse_index_base_b.kd
    .uniform_work_group_size: 1
    .uses_dynamic_stack: false
    .vgpr_count:     9
    .vgpr_spill_count: 0
    .wavefront_size: 32
  - .args:
      - .offset:         0
        .size:           8
        .value_kind:     by_value
      - .offset:         8
        .size:           8
        .value_kind:     by_value
      - .actual_access:  read_only
        .address_space:  global
        .offset:         16
        .size:           8
        .value_kind:     global_buffer
      - .actual_access:  read_only
        .address_space:  global
        .offset:         24
        .size:           8
        .value_kind:     global_buffer
      - .actual_access:  read_only
        .address_space:  global
        .offset:         32
        .size:           8
        .value_kind:     global_buffer
      - .actual_access:  read_only
        .address_space:  global
        .offset:         40
        .size:           8
        .value_kind:     global_buffer
      - .address_space:  global
        .offset:         48
        .size:           8
        .value_kind:     global_buffer
      - .offset:         56
        .size:           4
        .value_kind:     by_value
      - .offset:         60
        .size:           1
        .value_kind:     by_value
    .group_segment_fixed_size: 2048
    .kernarg_segment_align: 8
    .kernarg_segment_size: 64
    .language:       OpenCL C
    .language_version:
      - 2
      - 0
    .max_flat_workgroup_size: 256
    .name:           _ZN9rocsparseL19coomvn_atomic_loopsILj256ELj2EiaaffEEvlNS_24const_host_device_scalarIT5_EEPKT1_S6_PKT2_PKT3_PT4_21rocsparse_index_base_b
    .private_segment_fixed_size: 0
    .sgpr_count:     28
    .sgpr_spill_count: 0
    .symbol:         _ZN9rocsparseL19coomvn_atomic_loopsILj256ELj2EiaaffEEvlNS_24const_host_device_scalarIT5_EEPKT1_S6_PKT2_PKT3_PT4_21rocsparse_index_base_b.kd
    .uniform_work_group_size: 1
    .uses_dynamic_stack: false
    .vgpr_count:     20
    .vgpr_spill_count: 0
    .wavefront_size: 32
  - .args:
      - .offset:         0
        .size:           8
        .value_kind:     by_value
      - .offset:         8
        .size:           8
        .value_kind:     by_value
      - .offset:         16
        .size:           8
        .value_kind:     by_value
      - .actual_access:  read_only
        .address_space:  global
        .offset:         24
        .size:           8
        .value_kind:     global_buffer
      - .actual_access:  read_only
        .address_space:  global
        .offset:         32
        .size:           8
        .value_kind:     global_buffer
      - .actual_access:  read_only
        .address_space:  global
        .offset:         40
        .size:           8
        .value_kind:     global_buffer
      - .actual_access:  read_only
        .address_space:  global
        .offset:         48
        .size:           8
        .value_kind:     global_buffer
      - .address_space:  global
        .offset:         56
        .size:           8
        .value_kind:     global_buffer
      - .actual_access:  write_only
        .address_space:  global
        .offset:         64
        .size:           8
        .value_kind:     global_buffer
      - .actual_access:  write_only
        .address_space:  global
        .offset:         72
        .size:           8
        .value_kind:     global_buffer
      - .offset:         80
        .size:           4
        .value_kind:     by_value
      - .offset:         84
        .size:           1
        .value_kind:     by_value
    .group_segment_fixed_size: 3072
    .kernarg_segment_align: 8
    .kernarg_segment_size: 88
    .language:       OpenCL C
    .language_version:
      - 2
      - 0
    .max_flat_workgroup_size: 256
    .name:           _ZN9rocsparseL22coomvn_segmented_loopsILj256ElaaffEEvlT0_NS_24const_host_device_scalarIT4_EEPKS1_S6_PKT1_PKT2_PT3_PS1_PS3_21rocsparse_index_base_b
    .private_segment_fixed_size: 0
    .sgpr_count:     40
    .sgpr_spill_count: 0
    .symbol:         _ZN9rocsparseL22coomvn_segmented_loopsILj256ElaaffEEvlT0_NS_24const_host_device_scalarIT4_EEPKS1_S6_PKT1_PKT2_PT3_PS1_PS3_21rocsparse_index_base_b.kd
    .uniform_work_group_size: 1
    .uses_dynamic_stack: false
    .vgpr_count:     34
    .vgpr_spill_count: 0
    .wavefront_size: 32
  - .args:
      - .offset:         0
        .size:           4
        .value_kind:     by_value
      - .offset:         8
        .size:           8
        .value_kind:     by_value
      - .offset:         16
        .size:           8
        .value_kind:     by_value
      - .actual_access:  read_only
        .address_space:  global
        .offset:         24
        .size:           8
        .value_kind:     global_buffer
      - .actual_access:  read_only
        .address_space:  global
        .offset:         32
        .size:           8
        .value_kind:     global_buffer
      - .actual_access:  read_only
        .address_space:  global
        .offset:         40
        .size:           8
        .value_kind:     global_buffer
      - .actual_access:  read_only
        .address_space:  global
        .offset:         48
        .size:           8
        .value_kind:     global_buffer
      - .address_space:  global
        .offset:         56
        .size:           8
        .value_kind:     global_buffer
      - .offset:         64
        .size:           4
        .value_kind:     by_value
      - .offset:         68
        .size:           1
        .value_kind:     by_value
      - .offset:         72
        .size:           4
        .value_kind:     hidden_block_count_x
      - .offset:         76
        .size:           4
        .value_kind:     hidden_block_count_y
      - .offset:         80
        .size:           4
        .value_kind:     hidden_block_count_z
      - .offset:         84
        .size:           2
        .value_kind:     hidden_group_size_x
      - .offset:         86
        .size:           2
        .value_kind:     hidden_group_size_y
      - .offset:         88
        .size:           2
        .value_kind:     hidden_group_size_z
      - .offset:         90
        .size:           2
        .value_kind:     hidden_remainder_x
      - .offset:         92
        .size:           2
        .value_kind:     hidden_remainder_y
      - .offset:         94
        .size:           2
        .value_kind:     hidden_remainder_z
      - .offset:         112
        .size:           8
        .value_kind:     hidden_global_offset_x
      - .offset:         120
        .size:           8
        .value_kind:     hidden_global_offset_y
      - .offset:         128
        .size:           8
        .value_kind:     hidden_global_offset_z
      - .offset:         136
        .size:           2
        .value_kind:     hidden_grid_dims
    .group_segment_fixed_size: 0
    .kernarg_segment_align: 8
    .kernarg_segment_size: 328
    .language:       OpenCL C
    .language_version:
      - 2
      - 0
    .max_flat_workgroup_size: 1024
    .name:           _ZN9rocsparseL13coomvt_kernelILj1024ElaaffEEv20rocsparse_operation_lNS_24const_host_device_scalarIT4_EEPKT0_S7_PKT1_PKT2_PT3_21rocsparse_index_base_b
    .private_segment_fixed_size: 0
    .sgpr_count:     18
    .sgpr_spill_count: 0
    .symbol:         _ZN9rocsparseL13coomvt_kernelILj1024ElaaffEEv20rocsparse_operation_lNS_24const_host_device_scalarIT4_EEPKT0_S7_PKT1_PKT2_PT3_21rocsparse_index_base_b.kd
    .uniform_work_group_size: 1
    .uses_dynamic_stack: false
    .vgpr_count:     10
    .vgpr_spill_count: 0
    .wavefront_size: 32
  - .args:
      - .offset:         0
        .size:           8
        .value_kind:     by_value
      - .offset:         8
        .size:           8
        .value_kind:     by_value
      - .actual_access:  read_only
        .address_space:  global
        .offset:         16
        .size:           8
        .value_kind:     global_buffer
      - .actual_access:  read_only
        .address_space:  global
        .offset:         24
        .size:           8
        .value_kind:     global_buffer
      - .actual_access:  read_only
        .address_space:  global
        .offset:         32
        .size:           8
        .value_kind:     global_buffer
      - .actual_access:  read_only
        .address_space:  global
        .offset:         40
        .size:           8
        .value_kind:     global_buffer
      - .address_space:  global
        .offset:         48
        .size:           8
        .value_kind:     global_buffer
      - .offset:         56
        .size:           4
        .value_kind:     by_value
      - .offset:         60
        .size:           1
        .value_kind:     by_value
    .group_segment_fixed_size: 3072
    .kernarg_segment_align: 8
    .kernarg_segment_size: 64
    .language:       OpenCL C
    .language_version:
      - 2
      - 0
    .max_flat_workgroup_size: 256
    .name:           _ZN9rocsparseL19coomvn_atomic_loopsILj256ELj1ElaaffEEvlNS_24const_host_device_scalarIT5_EEPKT1_S6_PKT2_PKT3_PT4_21rocsparse_index_base_b
    .private_segment_fixed_size: 0
    .sgpr_count:     18
    .sgpr_spill_count: 0
    .symbol:         _ZN9rocsparseL19coomvn_atomic_loopsILj256ELj1ElaaffEEvlNS_24const_host_device_scalarIT5_EEPKT1_S6_PKT2_PKT3_PT4_21rocsparse_index_base_b.kd
    .uniform_work_group_size: 1
    .uses_dynamic_stack: false
    .vgpr_count:     11
    .vgpr_spill_count: 0
    .wavefront_size: 32
  - .args:
      - .offset:         0
        .size:           8
        .value_kind:     by_value
      - .offset:         8
        .size:           8
        .value_kind:     by_value
      - .actual_access:  read_only
        .address_space:  global
        .offset:         16
        .size:           8
        .value_kind:     global_buffer
      - .actual_access:  read_only
        .address_space:  global
        .offset:         24
        .size:           8
        .value_kind:     global_buffer
      - .actual_access:  read_only
        .address_space:  global
        .offset:         32
        .size:           8
        .value_kind:     global_buffer
      - .actual_access:  read_only
        .address_space:  global
        .offset:         40
        .size:           8
        .value_kind:     global_buffer
      - .address_space:  global
        .offset:         48
        .size:           8
        .value_kind:     global_buffer
      - .offset:         56
        .size:           4
        .value_kind:     by_value
      - .offset:         60
        .size:           1
        .value_kind:     by_value
    .group_segment_fixed_size: 3072
    .kernarg_segment_align: 8
    .kernarg_segment_size: 64
    .language:       OpenCL C
    .language_version:
      - 2
      - 0
    .max_flat_workgroup_size: 256
    .name:           _ZN9rocsparseL19coomvn_atomic_loopsILj256ELj2ElaaffEEvlNS_24const_host_device_scalarIT5_EEPKT1_S6_PKT2_PKT3_PT4_21rocsparse_index_base_b
    .private_segment_fixed_size: 0
    .sgpr_count:     28
    .sgpr_spill_count: 0
    .symbol:         _ZN9rocsparseL19coomvn_atomic_loopsILj256ELj2ElaaffEEvlNS_24const_host_device_scalarIT5_EEPKT1_S6_PKT2_PKT3_PT4_21rocsparse_index_base_b.kd
    .uniform_work_group_size: 1
    .uses_dynamic_stack: false
    .vgpr_count:     22
    .vgpr_spill_count: 0
    .wavefront_size: 32
  - .args:
      - .offset:         0
        .size:           8
        .value_kind:     by_value
      - .offset:         8
        .size:           4
        .value_kind:     by_value
      - .offset:         16
        .size:           8
        .value_kind:     by_value
      - .actual_access:  read_only
        .address_space:  global
        .offset:         24
        .size:           8
        .value_kind:     global_buffer
      - .actual_access:  read_only
        .address_space:  global
        .offset:         32
        .size:           8
        .value_kind:     global_buffer
      - .actual_access:  read_only
        .address_space:  global
        .offset:         40
        .size:           8
        .value_kind:     global_buffer
      - .actual_access:  read_only
        .address_space:  global
        .offset:         48
        .size:           8
        .value_kind:     global_buffer
      - .address_space:  global
        .offset:         56
        .size:           8
        .value_kind:     global_buffer
      - .actual_access:  write_only
        .address_space:  global
        .offset:         64
        .size:           8
        .value_kind:     global_buffer
      - .actual_access:  write_only
        .address_space:  global
        .offset:         72
        .size:           8
        .value_kind:     global_buffer
      - .offset:         80
        .size:           4
        .value_kind:     by_value
      - .offset:         84
        .size:           1
        .value_kind:     by_value
    .group_segment_fixed_size: 2048
    .kernarg_segment_align: 8
    .kernarg_segment_size: 88
    .language:       OpenCL C
    .language_version:
      - 2
      - 0
    .max_flat_workgroup_size: 256
    .name:           _ZN9rocsparseL22coomvn_segmented_loopsILj256EiDF16_DF16_ffEEvlT0_NS_24const_host_device_scalarIT4_EEPKS1_S6_PKT1_PKT2_PT3_PS1_PS3_21rocsparse_index_base_b
    .private_segment_fixed_size: 0
    .sgpr_count:     34
    .sgpr_spill_count: 0
    .symbol:         _ZN9rocsparseL22coomvn_segmented_loopsILj256EiDF16_DF16_ffEEvlT0_NS_24const_host_device_scalarIT4_EEPKS1_S6_PKT1_PKT2_PT3_PS1_PS3_21rocsparse_index_base_b.kd
    .uniform_work_group_size: 1
    .uses_dynamic_stack: false
    .vgpr_count:     33
    .vgpr_spill_count: 0
    .wavefront_size: 32
  - .args:
      - .offset:         0
        .size:           4
        .value_kind:     by_value
      - .offset:         8
        .size:           8
        .value_kind:     by_value
      - .offset:         16
        .size:           8
        .value_kind:     by_value
      - .actual_access:  read_only
        .address_space:  global
        .offset:         24
        .size:           8
        .value_kind:     global_buffer
      - .actual_access:  read_only
        .address_space:  global
        .offset:         32
        .size:           8
        .value_kind:     global_buffer
      - .actual_access:  read_only
        .address_space:  global
        .offset:         40
        .size:           8
        .value_kind:     global_buffer
      - .actual_access:  read_only
        .address_space:  global
        .offset:         48
        .size:           8
        .value_kind:     global_buffer
      - .address_space:  global
        .offset:         56
        .size:           8
        .value_kind:     global_buffer
      - .offset:         64
        .size:           4
        .value_kind:     by_value
      - .offset:         68
        .size:           1
        .value_kind:     by_value
      - .offset:         72
        .size:           4
        .value_kind:     hidden_block_count_x
      - .offset:         76
        .size:           4
        .value_kind:     hidden_block_count_y
      - .offset:         80
        .size:           4
        .value_kind:     hidden_block_count_z
      - .offset:         84
        .size:           2
        .value_kind:     hidden_group_size_x
      - .offset:         86
        .size:           2
        .value_kind:     hidden_group_size_y
      - .offset:         88
        .size:           2
        .value_kind:     hidden_group_size_z
      - .offset:         90
        .size:           2
        .value_kind:     hidden_remainder_x
      - .offset:         92
        .size:           2
        .value_kind:     hidden_remainder_y
      - .offset:         94
        .size:           2
        .value_kind:     hidden_remainder_z
      - .offset:         112
        .size:           8
        .value_kind:     hidden_global_offset_x
      - .offset:         120
        .size:           8
        .value_kind:     hidden_global_offset_y
      - .offset:         128
        .size:           8
        .value_kind:     hidden_global_offset_z
      - .offset:         136
        .size:           2
        .value_kind:     hidden_grid_dims
    .group_segment_fixed_size: 0
    .kernarg_segment_align: 8
    .kernarg_segment_size: 328
    .language:       OpenCL C
    .language_version:
      - 2
      - 0
    .max_flat_workgroup_size: 1024
    .name:           _ZN9rocsparseL13coomvt_kernelILj1024EiDF16_DF16_ffEEv20rocsparse_operation_lNS_24const_host_device_scalarIT4_EEPKT0_S7_PKT1_PKT2_PT3_21rocsparse_index_base_b
    .private_segment_fixed_size: 0
    .sgpr_count:     18
    .sgpr_spill_count: 0
    .symbol:         _ZN9rocsparseL13coomvt_kernelILj1024EiDF16_DF16_ffEEv20rocsparse_operation_lNS_24const_host_device_scalarIT4_EEPKT0_S7_PKT1_PKT2_PT3_21rocsparse_index_base_b.kd
    .uniform_work_group_size: 1
    .uses_dynamic_stack: false
    .vgpr_count:     6
    .vgpr_spill_count: 0
    .wavefront_size: 32
  - .args:
      - .offset:         0
        .size:           8
        .value_kind:     by_value
      - .offset:         8
        .size:           8
        .value_kind:     by_value
      - .actual_access:  read_only
        .address_space:  global
        .offset:         16
        .size:           8
        .value_kind:     global_buffer
      - .actual_access:  read_only
        .address_space:  global
        .offset:         24
        .size:           8
        .value_kind:     global_buffer
      - .actual_access:  read_only
        .address_space:  global
        .offset:         32
        .size:           8
        .value_kind:     global_buffer
      - .actual_access:  read_only
        .address_space:  global
        .offset:         40
        .size:           8
        .value_kind:     global_buffer
      - .address_space:  global
        .offset:         48
        .size:           8
        .value_kind:     global_buffer
      - .offset:         56
        .size:           4
        .value_kind:     by_value
      - .offset:         60
        .size:           1
        .value_kind:     by_value
    .group_segment_fixed_size: 2048
    .kernarg_segment_align: 8
    .kernarg_segment_size: 64
    .language:       OpenCL C
    .language_version:
      - 2
      - 0
    .max_flat_workgroup_size: 256
    .name:           _ZN9rocsparseL19coomvn_atomic_loopsILj256ELj1EiDF16_DF16_ffEEvlNS_24const_host_device_scalarIT5_EEPKT1_S6_PKT2_PKT3_PT4_21rocsparse_index_base_b
    .private_segment_fixed_size: 0
    .sgpr_count:     18
    .sgpr_spill_count: 0
    .symbol:         _ZN9rocsparseL19coomvn_atomic_loopsILj256ELj1EiDF16_DF16_ffEEvlNS_24const_host_device_scalarIT5_EEPKT1_S6_PKT2_PKT3_PT4_21rocsparse_index_base_b.kd
    .uniform_work_group_size: 1
    .uses_dynamic_stack: false
    .vgpr_count:     9
    .vgpr_spill_count: 0
    .wavefront_size: 32
  - .args:
      - .offset:         0
        .size:           8
        .value_kind:     by_value
      - .offset:         8
        .size:           8
        .value_kind:     by_value
      - .actual_access:  read_only
        .address_space:  global
        .offset:         16
        .size:           8
        .value_kind:     global_buffer
      - .actual_access:  read_only
        .address_space:  global
        .offset:         24
        .size:           8
        .value_kind:     global_buffer
      - .actual_access:  read_only
        .address_space:  global
        .offset:         32
        .size:           8
        .value_kind:     global_buffer
      - .actual_access:  read_only
        .address_space:  global
        .offset:         40
        .size:           8
        .value_kind:     global_buffer
      - .address_space:  global
        .offset:         48
        .size:           8
        .value_kind:     global_buffer
      - .offset:         56
        .size:           4
        .value_kind:     by_value
      - .offset:         60
        .size:           1
        .value_kind:     by_value
    .group_segment_fixed_size: 2048
    .kernarg_segment_align: 8
    .kernarg_segment_size: 64
    .language:       OpenCL C
    .language_version:
      - 2
      - 0
    .max_flat_workgroup_size: 256
    .name:           _ZN9rocsparseL19coomvn_atomic_loopsILj256ELj2EiDF16_DF16_ffEEvlNS_24const_host_device_scalarIT5_EEPKT1_S6_PKT2_PKT3_PT4_21rocsparse_index_base_b
    .private_segment_fixed_size: 0
    .sgpr_count:     28
    .sgpr_spill_count: 0
    .symbol:         _ZN9rocsparseL19coomvn_atomic_loopsILj256ELj2EiDF16_DF16_ffEEvlNS_24const_host_device_scalarIT5_EEPKT1_S6_PKT2_PKT3_PT4_21rocsparse_index_base_b.kd
    .uniform_work_group_size: 1
    .uses_dynamic_stack: false
    .vgpr_count:     20
    .vgpr_spill_count: 0
    .wavefront_size: 32
  - .args:
      - .offset:         0
        .size:           8
        .value_kind:     by_value
      - .offset:         8
        .size:           8
        .value_kind:     by_value
      - .offset:         16
        .size:           8
        .value_kind:     by_value
      - .actual_access:  read_only
        .address_space:  global
        .offset:         24
        .size:           8
        .value_kind:     global_buffer
      - .actual_access:  read_only
        .address_space:  global
        .offset:         32
        .size:           8
        .value_kind:     global_buffer
      - .actual_access:  read_only
        .address_space:  global
        .offset:         40
        .size:           8
        .value_kind:     global_buffer
      - .actual_access:  read_only
        .address_space:  global
        .offset:         48
        .size:           8
        .value_kind:     global_buffer
      - .address_space:  global
        .offset:         56
        .size:           8
        .value_kind:     global_buffer
      - .actual_access:  write_only
        .address_space:  global
        .offset:         64
        .size:           8
        .value_kind:     global_buffer
      - .actual_access:  write_only
        .address_space:  global
        .offset:         72
        .size:           8
        .value_kind:     global_buffer
      - .offset:         80
        .size:           4
        .value_kind:     by_value
      - .offset:         84
        .size:           1
        .value_kind:     by_value
    .group_segment_fixed_size: 3072
    .kernarg_segment_align: 8
    .kernarg_segment_size: 88
    .language:       OpenCL C
    .language_version:
      - 2
      - 0
    .max_flat_workgroup_size: 256
    .name:           _ZN9rocsparseL22coomvn_segmented_loopsILj256ElDF16_DF16_ffEEvlT0_NS_24const_host_device_scalarIT4_EEPKS1_S6_PKT1_PKT2_PT3_PS1_PS3_21rocsparse_index_base_b
    .private_segment_fixed_size: 0
    .sgpr_count:     42
    .sgpr_spill_count: 0
    .symbol:         _ZN9rocsparseL22coomvn_segmented_loopsILj256ElDF16_DF16_ffEEvlT0_NS_24const_host_device_scalarIT4_EEPKS1_S6_PKT1_PKT2_PT3_PS1_PS3_21rocsparse_index_base_b.kd
    .uniform_work_group_size: 1
    .uses_dynamic_stack: false
    .vgpr_count:     35
    .vgpr_spill_count: 0
    .wavefront_size: 32
  - .args:
      - .offset:         0
        .size:           4
        .value_kind:     by_value
      - .offset:         8
        .size:           8
        .value_kind:     by_value
      - .offset:         16
        .size:           8
        .value_kind:     by_value
      - .actual_access:  read_only
        .address_space:  global
        .offset:         24
        .size:           8
        .value_kind:     global_buffer
      - .actual_access:  read_only
        .address_space:  global
        .offset:         32
        .size:           8
        .value_kind:     global_buffer
      - .actual_access:  read_only
        .address_space:  global
        .offset:         40
        .size:           8
        .value_kind:     global_buffer
      - .actual_access:  read_only
        .address_space:  global
        .offset:         48
        .size:           8
        .value_kind:     global_buffer
      - .address_space:  global
        .offset:         56
        .size:           8
        .value_kind:     global_buffer
      - .offset:         64
        .size:           4
        .value_kind:     by_value
      - .offset:         68
        .size:           1
        .value_kind:     by_value
      - .offset:         72
        .size:           4
        .value_kind:     hidden_block_count_x
      - .offset:         76
        .size:           4
        .value_kind:     hidden_block_count_y
      - .offset:         80
        .size:           4
        .value_kind:     hidden_block_count_z
      - .offset:         84
        .size:           2
        .value_kind:     hidden_group_size_x
      - .offset:         86
        .size:           2
        .value_kind:     hidden_group_size_y
      - .offset:         88
        .size:           2
        .value_kind:     hidden_group_size_z
      - .offset:         90
        .size:           2
        .value_kind:     hidden_remainder_x
      - .offset:         92
        .size:           2
        .value_kind:     hidden_remainder_y
      - .offset:         94
        .size:           2
        .value_kind:     hidden_remainder_z
      - .offset:         112
        .size:           8
        .value_kind:     hidden_global_offset_x
      - .offset:         120
        .size:           8
        .value_kind:     hidden_global_offset_y
      - .offset:         128
        .size:           8
        .value_kind:     hidden_global_offset_z
      - .offset:         136
        .size:           2
        .value_kind:     hidden_grid_dims
    .group_segment_fixed_size: 0
    .kernarg_segment_align: 8
    .kernarg_segment_size: 328
    .language:       OpenCL C
    .language_version:
      - 2
      - 0
    .max_flat_workgroup_size: 1024
    .name:           _ZN9rocsparseL13coomvt_kernelILj1024ElDF16_DF16_ffEEv20rocsparse_operation_lNS_24const_host_device_scalarIT4_EEPKT0_S7_PKT1_PKT2_PT3_21rocsparse_index_base_b
    .private_segment_fixed_size: 0
    .sgpr_count:     18
    .sgpr_spill_count: 0
    .symbol:         _ZN9rocsparseL13coomvt_kernelILj1024ElDF16_DF16_ffEEv20rocsparse_operation_lNS_24const_host_device_scalarIT4_EEPKT0_S7_PKT1_PKT2_PT3_21rocsparse_index_base_b.kd
    .uniform_work_group_size: 1
    .uses_dynamic_stack: false
    .vgpr_count:     8
    .vgpr_spill_count: 0
    .wavefront_size: 32
  - .args:
      - .offset:         0
        .size:           8
        .value_kind:     by_value
      - .offset:         8
        .size:           8
        .value_kind:     by_value
      - .actual_access:  read_only
        .address_space:  global
        .offset:         16
        .size:           8
        .value_kind:     global_buffer
      - .actual_access:  read_only
        .address_space:  global
        .offset:         24
        .size:           8
        .value_kind:     global_buffer
      - .actual_access:  read_only
        .address_space:  global
        .offset:         32
        .size:           8
        .value_kind:     global_buffer
      - .actual_access:  read_only
        .address_space:  global
        .offset:         40
        .size:           8
        .value_kind:     global_buffer
      - .address_space:  global
        .offset:         48
        .size:           8
        .value_kind:     global_buffer
      - .offset:         56
        .size:           4
        .value_kind:     by_value
      - .offset:         60
        .size:           1
        .value_kind:     by_value
    .group_segment_fixed_size: 3072
    .kernarg_segment_align: 8
    .kernarg_segment_size: 64
    .language:       OpenCL C
    .language_version:
      - 2
      - 0
    .max_flat_workgroup_size: 256
    .name:           _ZN9rocsparseL19coomvn_atomic_loopsILj256ELj1ElDF16_DF16_ffEEvlNS_24const_host_device_scalarIT5_EEPKT1_S6_PKT2_PKT3_PT4_21rocsparse_index_base_b
    .private_segment_fixed_size: 0
    .sgpr_count:     18
    .sgpr_spill_count: 0
    .symbol:         _ZN9rocsparseL19coomvn_atomic_loopsILj256ELj1ElDF16_DF16_ffEEvlNS_24const_host_device_scalarIT5_EEPKT1_S6_PKT2_PKT3_PT4_21rocsparse_index_base_b.kd
    .uniform_work_group_size: 1
    .uses_dynamic_stack: false
    .vgpr_count:     11
    .vgpr_spill_count: 0
    .wavefront_size: 32
  - .args:
      - .offset:         0
        .size:           8
        .value_kind:     by_value
      - .offset:         8
        .size:           8
        .value_kind:     by_value
      - .actual_access:  read_only
        .address_space:  global
        .offset:         16
        .size:           8
        .value_kind:     global_buffer
      - .actual_access:  read_only
        .address_space:  global
        .offset:         24
        .size:           8
        .value_kind:     global_buffer
      - .actual_access:  read_only
        .address_space:  global
        .offset:         32
        .size:           8
        .value_kind:     global_buffer
      - .actual_access:  read_only
        .address_space:  global
        .offset:         40
        .size:           8
        .value_kind:     global_buffer
      - .address_space:  global
        .offset:         48
        .size:           8
        .value_kind:     global_buffer
      - .offset:         56
        .size:           4
        .value_kind:     by_value
      - .offset:         60
        .size:           1
        .value_kind:     by_value
    .group_segment_fixed_size: 3072
    .kernarg_segment_align: 8
    .kernarg_segment_size: 64
    .language:       OpenCL C
    .language_version:
      - 2
      - 0
    .max_flat_workgroup_size: 256
    .name:           _ZN9rocsparseL19coomvn_atomic_loopsILj256ELj2ElDF16_DF16_ffEEvlNS_24const_host_device_scalarIT5_EEPKT1_S6_PKT2_PKT3_PT4_21rocsparse_index_base_b
    .private_segment_fixed_size: 0
    .sgpr_count:     28
    .sgpr_spill_count: 0
    .symbol:         _ZN9rocsparseL19coomvn_atomic_loopsILj256ELj2ElDF16_DF16_ffEEvlNS_24const_host_device_scalarIT5_EEPKT1_S6_PKT2_PKT3_PT4_21rocsparse_index_base_b.kd
    .uniform_work_group_size: 1
    .uses_dynamic_stack: false
    .vgpr_count:     22
    .vgpr_spill_count: 0
    .wavefront_size: 32
  - .args:
      - .offset:         0
        .size:           8
        .value_kind:     by_value
      - .offset:         8
        .size:           4
        .value_kind:     by_value
      - .offset:         16
        .size:           8
        .value_kind:     by_value
      - .actual_access:  read_only
        .address_space:  global
        .offset:         24
        .size:           8
        .value_kind:     global_buffer
      - .actual_access:  read_only
        .address_space:  global
        .offset:         32
        .size:           8
        .value_kind:     global_buffer
      - .actual_access:  read_only
        .address_space:  global
        .offset:         40
        .size:           8
        .value_kind:     global_buffer
      - .actual_access:  read_only
        .address_space:  global
        .offset:         48
        .size:           8
        .value_kind:     global_buffer
      - .address_space:  global
        .offset:         56
        .size:           8
        .value_kind:     global_buffer
      - .actual_access:  write_only
        .address_space:  global
        .offset:         64
        .size:           8
        .value_kind:     global_buffer
      - .actual_access:  write_only
        .address_space:  global
        .offset:         72
        .size:           8
        .value_kind:     global_buffer
      - .offset:         80
        .size:           4
        .value_kind:     by_value
      - .offset:         84
        .size:           1
        .value_kind:     by_value
    .group_segment_fixed_size: 2048
    .kernarg_segment_align: 8
    .kernarg_segment_size: 88
    .language:       OpenCL C
    .language_version:
      - 2
      - 0
    .max_flat_workgroup_size: 256
    .name:           _ZN9rocsparseL22coomvn_segmented_loopsILj256Ei18rocsparse_bfloat16S1_ffEEvlT0_NS_24const_host_device_scalarIT4_EEPKS2_S7_PKT1_PKT2_PT3_PS2_PS4_21rocsparse_index_base_b
    .private_segment_fixed_size: 0
    .sgpr_count:     34
    .sgpr_spill_count: 0
    .symbol:         _ZN9rocsparseL22coomvn_segmented_loopsILj256Ei18rocsparse_bfloat16S1_ffEEvlT0_NS_24const_host_device_scalarIT4_EEPKS2_S7_PKT1_PKT2_PT3_PS2_PS4_21rocsparse_index_base_b.kd
    .uniform_work_group_size: 1
    .uses_dynamic_stack: false
    .vgpr_count:     33
    .vgpr_spill_count: 0
    .wavefront_size: 32
  - .args:
      - .offset:         0
        .size:           4
        .value_kind:     by_value
      - .offset:         8
        .size:           8
        .value_kind:     by_value
      - .offset:         16
        .size:           8
        .value_kind:     by_value
      - .actual_access:  read_only
        .address_space:  global
        .offset:         24
        .size:           8
        .value_kind:     global_buffer
      - .actual_access:  read_only
        .address_space:  global
        .offset:         32
        .size:           8
        .value_kind:     global_buffer
      - .actual_access:  read_only
        .address_space:  global
        .offset:         40
        .size:           8
        .value_kind:     global_buffer
      - .actual_access:  read_only
        .address_space:  global
        .offset:         48
        .size:           8
        .value_kind:     global_buffer
      - .address_space:  global
        .offset:         56
        .size:           8
        .value_kind:     global_buffer
      - .offset:         64
        .size:           4
        .value_kind:     by_value
      - .offset:         68
        .size:           1
        .value_kind:     by_value
      - .offset:         72
        .size:           4
        .value_kind:     hidden_block_count_x
      - .offset:         76
        .size:           4
        .value_kind:     hidden_block_count_y
      - .offset:         80
        .size:           4
        .value_kind:     hidden_block_count_z
      - .offset:         84
        .size:           2
        .value_kind:     hidden_group_size_x
      - .offset:         86
        .size:           2
        .value_kind:     hidden_group_size_y
      - .offset:         88
        .size:           2
        .value_kind:     hidden_group_size_z
      - .offset:         90
        .size:           2
        .value_kind:     hidden_remainder_x
      - .offset:         92
        .size:           2
        .value_kind:     hidden_remainder_y
      - .offset:         94
        .size:           2
        .value_kind:     hidden_remainder_z
      - .offset:         112
        .size:           8
        .value_kind:     hidden_global_offset_x
      - .offset:         120
        .size:           8
        .value_kind:     hidden_global_offset_y
      - .offset:         128
        .size:           8
        .value_kind:     hidden_global_offset_z
      - .offset:         136
        .size:           2
        .value_kind:     hidden_grid_dims
    .group_segment_fixed_size: 0
    .kernarg_segment_align: 8
    .kernarg_segment_size: 328
    .language:       OpenCL C
    .language_version:
      - 2
      - 0
    .max_flat_workgroup_size: 1024
    .name:           _ZN9rocsparseL13coomvt_kernelILj1024Ei18rocsparse_bfloat16S1_ffEEv20rocsparse_operation_lNS_24const_host_device_scalarIT4_EEPKT0_S8_PKT1_PKT2_PT3_21rocsparse_index_base_b
    .private_segment_fixed_size: 0
    .sgpr_count:     18
    .sgpr_spill_count: 0
    .symbol:         _ZN9rocsparseL13coomvt_kernelILj1024Ei18rocsparse_bfloat16S1_ffEEv20rocsparse_operation_lNS_24const_host_device_scalarIT4_EEPKT0_S8_PKT1_PKT2_PT3_21rocsparse_index_base_b.kd
    .uniform_work_group_size: 1
    .uses_dynamic_stack: false
    .vgpr_count:     6
    .vgpr_spill_count: 0
    .wavefront_size: 32
  - .args:
      - .offset:         0
        .size:           8
        .value_kind:     by_value
      - .offset:         8
        .size:           8
        .value_kind:     by_value
      - .actual_access:  read_only
        .address_space:  global
        .offset:         16
        .size:           8
        .value_kind:     global_buffer
      - .actual_access:  read_only
        .address_space:  global
        .offset:         24
        .size:           8
        .value_kind:     global_buffer
      - .actual_access:  read_only
        .address_space:  global
        .offset:         32
        .size:           8
        .value_kind:     global_buffer
      - .actual_access:  read_only
        .address_space:  global
        .offset:         40
        .size:           8
        .value_kind:     global_buffer
      - .address_space:  global
        .offset:         48
        .size:           8
        .value_kind:     global_buffer
      - .offset:         56
        .size:           4
        .value_kind:     by_value
      - .offset:         60
        .size:           1
        .value_kind:     by_value
    .group_segment_fixed_size: 2048
    .kernarg_segment_align: 8
    .kernarg_segment_size: 64
    .language:       OpenCL C
    .language_version:
      - 2
      - 0
    .max_flat_workgroup_size: 256
    .name:           _ZN9rocsparseL19coomvn_atomic_loopsILj256ELj1Ei18rocsparse_bfloat16S1_ffEEvlNS_24const_host_device_scalarIT5_EEPKT1_S7_PKT2_PKT3_PT4_21rocsparse_index_base_b
    .private_segment_fixed_size: 0
    .sgpr_count:     18
    .sgpr_spill_count: 0
    .symbol:         _ZN9rocsparseL19coomvn_atomic_loopsILj256ELj1Ei18rocsparse_bfloat16S1_ffEEvlNS_24const_host_device_scalarIT5_EEPKT1_S7_PKT2_PKT3_PT4_21rocsparse_index_base_b.kd
    .uniform_work_group_size: 1
    .uses_dynamic_stack: false
    .vgpr_count:     9
    .vgpr_spill_count: 0
    .wavefront_size: 32
  - .args:
      - .offset:         0
        .size:           8
        .value_kind:     by_value
      - .offset:         8
        .size:           8
        .value_kind:     by_value
      - .actual_access:  read_only
        .address_space:  global
        .offset:         16
        .size:           8
        .value_kind:     global_buffer
      - .actual_access:  read_only
        .address_space:  global
        .offset:         24
        .size:           8
        .value_kind:     global_buffer
      - .actual_access:  read_only
        .address_space:  global
        .offset:         32
        .size:           8
        .value_kind:     global_buffer
      - .actual_access:  read_only
        .address_space:  global
        .offset:         40
        .size:           8
        .value_kind:     global_buffer
      - .address_space:  global
        .offset:         48
        .size:           8
        .value_kind:     global_buffer
      - .offset:         56
        .size:           4
        .value_kind:     by_value
      - .offset:         60
        .size:           1
        .value_kind:     by_value
    .group_segment_fixed_size: 2048
    .kernarg_segment_align: 8
    .kernarg_segment_size: 64
    .language:       OpenCL C
    .language_version:
      - 2
      - 0
    .max_flat_workgroup_size: 256
    .name:           _ZN9rocsparseL19coomvn_atomic_loopsILj256ELj2Ei18rocsparse_bfloat16S1_ffEEvlNS_24const_host_device_scalarIT5_EEPKT1_S7_PKT2_PKT3_PT4_21rocsparse_index_base_b
    .private_segment_fixed_size: 0
    .sgpr_count:     28
    .sgpr_spill_count: 0
    .symbol:         _ZN9rocsparseL19coomvn_atomic_loopsILj256ELj2Ei18rocsparse_bfloat16S1_ffEEvlNS_24const_host_device_scalarIT5_EEPKT1_S7_PKT2_PKT3_PT4_21rocsparse_index_base_b.kd
    .uniform_work_group_size: 1
    .uses_dynamic_stack: false
    .vgpr_count:     20
    .vgpr_spill_count: 0
    .wavefront_size: 32
  - .args:
      - .offset:         0
        .size:           8
        .value_kind:     by_value
      - .offset:         8
        .size:           8
        .value_kind:     by_value
      - .offset:         16
        .size:           8
        .value_kind:     by_value
      - .actual_access:  read_only
        .address_space:  global
        .offset:         24
        .size:           8
        .value_kind:     global_buffer
      - .actual_access:  read_only
        .address_space:  global
        .offset:         32
        .size:           8
        .value_kind:     global_buffer
      - .actual_access:  read_only
        .address_space:  global
        .offset:         40
        .size:           8
        .value_kind:     global_buffer
      - .actual_access:  read_only
        .address_space:  global
        .offset:         48
        .size:           8
        .value_kind:     global_buffer
      - .address_space:  global
        .offset:         56
        .size:           8
        .value_kind:     global_buffer
      - .actual_access:  write_only
        .address_space:  global
        .offset:         64
        .size:           8
        .value_kind:     global_buffer
      - .actual_access:  write_only
        .address_space:  global
        .offset:         72
        .size:           8
        .value_kind:     global_buffer
      - .offset:         80
        .size:           4
        .value_kind:     by_value
      - .offset:         84
        .size:           1
        .value_kind:     by_value
    .group_segment_fixed_size: 3072
    .kernarg_segment_align: 8
    .kernarg_segment_size: 88
    .language:       OpenCL C
    .language_version:
      - 2
      - 0
    .max_flat_workgroup_size: 256
    .name:           _ZN9rocsparseL22coomvn_segmented_loopsILj256El18rocsparse_bfloat16S1_ffEEvlT0_NS_24const_host_device_scalarIT4_EEPKS2_S7_PKT1_PKT2_PT3_PS2_PS4_21rocsparse_index_base_b
    .private_segment_fixed_size: 0
    .sgpr_count:     42
    .sgpr_spill_count: 0
    .symbol:         _ZN9rocsparseL22coomvn_segmented_loopsILj256El18rocsparse_bfloat16S1_ffEEvlT0_NS_24const_host_device_scalarIT4_EEPKS2_S7_PKT1_PKT2_PT3_PS2_PS4_21rocsparse_index_base_b.kd
    .uniform_work_group_size: 1
    .uses_dynamic_stack: false
    .vgpr_count:     35
    .vgpr_spill_count: 0
    .wavefront_size: 32
  - .args:
      - .offset:         0
        .size:           4
        .value_kind:     by_value
      - .offset:         8
        .size:           8
        .value_kind:     by_value
      - .offset:         16
        .size:           8
        .value_kind:     by_value
      - .actual_access:  read_only
        .address_space:  global
        .offset:         24
        .size:           8
        .value_kind:     global_buffer
      - .actual_access:  read_only
        .address_space:  global
        .offset:         32
        .size:           8
        .value_kind:     global_buffer
      - .actual_access:  read_only
        .address_space:  global
        .offset:         40
        .size:           8
        .value_kind:     global_buffer
      - .actual_access:  read_only
        .address_space:  global
        .offset:         48
        .size:           8
        .value_kind:     global_buffer
      - .address_space:  global
        .offset:         56
        .size:           8
        .value_kind:     global_buffer
      - .offset:         64
        .size:           4
        .value_kind:     by_value
      - .offset:         68
        .size:           1
        .value_kind:     by_value
      - .offset:         72
        .size:           4
        .value_kind:     hidden_block_count_x
      - .offset:         76
        .size:           4
        .value_kind:     hidden_block_count_y
      - .offset:         80
        .size:           4
        .value_kind:     hidden_block_count_z
      - .offset:         84
        .size:           2
        .value_kind:     hidden_group_size_x
      - .offset:         86
        .size:           2
        .value_kind:     hidden_group_size_y
      - .offset:         88
        .size:           2
        .value_kind:     hidden_group_size_z
      - .offset:         90
        .size:           2
        .value_kind:     hidden_remainder_x
      - .offset:         92
        .size:           2
        .value_kind:     hidden_remainder_y
      - .offset:         94
        .size:           2
        .value_kind:     hidden_remainder_z
      - .offset:         112
        .size:           8
        .value_kind:     hidden_global_offset_x
      - .offset:         120
        .size:           8
        .value_kind:     hidden_global_offset_y
      - .offset:         128
        .size:           8
        .value_kind:     hidden_global_offset_z
      - .offset:         136
        .size:           2
        .value_kind:     hidden_grid_dims
    .group_segment_fixed_size: 0
    .kernarg_segment_align: 8
    .kernarg_segment_size: 328
    .language:       OpenCL C
    .language_version:
      - 2
      - 0
    .max_flat_workgroup_size: 1024
    .name:           _ZN9rocsparseL13coomvt_kernelILj1024El18rocsparse_bfloat16S1_ffEEv20rocsparse_operation_lNS_24const_host_device_scalarIT4_EEPKT0_S8_PKT1_PKT2_PT3_21rocsparse_index_base_b
    .private_segment_fixed_size: 0
    .sgpr_count:     18
    .sgpr_spill_count: 0
    .symbol:         _ZN9rocsparseL13coomvt_kernelILj1024El18rocsparse_bfloat16S1_ffEEv20rocsparse_operation_lNS_24const_host_device_scalarIT4_EEPKT0_S8_PKT1_PKT2_PT3_21rocsparse_index_base_b.kd
    .uniform_work_group_size: 1
    .uses_dynamic_stack: false
    .vgpr_count:     8
    .vgpr_spill_count: 0
    .wavefront_size: 32
  - .args:
      - .offset:         0
        .size:           8
        .value_kind:     by_value
      - .offset:         8
        .size:           8
        .value_kind:     by_value
      - .actual_access:  read_only
        .address_space:  global
        .offset:         16
        .size:           8
        .value_kind:     global_buffer
      - .actual_access:  read_only
        .address_space:  global
        .offset:         24
        .size:           8
        .value_kind:     global_buffer
      - .actual_access:  read_only
        .address_space:  global
        .offset:         32
        .size:           8
        .value_kind:     global_buffer
      - .actual_access:  read_only
        .address_space:  global
        .offset:         40
        .size:           8
        .value_kind:     global_buffer
      - .address_space:  global
        .offset:         48
        .size:           8
        .value_kind:     global_buffer
      - .offset:         56
        .size:           4
        .value_kind:     by_value
      - .offset:         60
        .size:           1
        .value_kind:     by_value
    .group_segment_fixed_size: 3072
    .kernarg_segment_align: 8
    .kernarg_segment_size: 64
    .language:       OpenCL C
    .language_version:
      - 2
      - 0
    .max_flat_workgroup_size: 256
    .name:           _ZN9rocsparseL19coomvn_atomic_loopsILj256ELj1El18rocsparse_bfloat16S1_ffEEvlNS_24const_host_device_scalarIT5_EEPKT1_S7_PKT2_PKT3_PT4_21rocsparse_index_base_b
    .private_segment_fixed_size: 0
    .sgpr_count:     18
    .sgpr_spill_count: 0
    .symbol:         _ZN9rocsparseL19coomvn_atomic_loopsILj256ELj1El18rocsparse_bfloat16S1_ffEEvlNS_24const_host_device_scalarIT5_EEPKT1_S7_PKT2_PKT3_PT4_21rocsparse_index_base_b.kd
    .uniform_work_group_size: 1
    .uses_dynamic_stack: false
    .vgpr_count:     11
    .vgpr_spill_count: 0
    .wavefront_size: 32
  - .args:
      - .offset:         0
        .size:           8
        .value_kind:     by_value
      - .offset:         8
        .size:           8
        .value_kind:     by_value
      - .actual_access:  read_only
        .address_space:  global
        .offset:         16
        .size:           8
        .value_kind:     global_buffer
      - .actual_access:  read_only
        .address_space:  global
        .offset:         24
        .size:           8
        .value_kind:     global_buffer
      - .actual_access:  read_only
        .address_space:  global
        .offset:         32
        .size:           8
        .value_kind:     global_buffer
      - .actual_access:  read_only
        .address_space:  global
        .offset:         40
        .size:           8
        .value_kind:     global_buffer
      - .address_space:  global
        .offset:         48
        .size:           8
        .value_kind:     global_buffer
      - .offset:         56
        .size:           4
        .value_kind:     by_value
      - .offset:         60
        .size:           1
        .value_kind:     by_value
    .group_segment_fixed_size: 3072
    .kernarg_segment_align: 8
    .kernarg_segment_size: 64
    .language:       OpenCL C
    .language_version:
      - 2
      - 0
    .max_flat_workgroup_size: 256
    .name:           _ZN9rocsparseL19coomvn_atomic_loopsILj256ELj2El18rocsparse_bfloat16S1_ffEEvlNS_24const_host_device_scalarIT5_EEPKT1_S7_PKT2_PKT3_PT4_21rocsparse_index_base_b
    .private_segment_fixed_size: 0
    .sgpr_count:     28
    .sgpr_spill_count: 0
    .symbol:         _ZN9rocsparseL19coomvn_atomic_loopsILj256ELj2El18rocsparse_bfloat16S1_ffEEvlNS_24const_host_device_scalarIT5_EEPKT1_S7_PKT2_PKT3_PT4_21rocsparse_index_base_b.kd
    .uniform_work_group_size: 1
    .uses_dynamic_stack: false
    .vgpr_count:     22
    .vgpr_spill_count: 0
    .wavefront_size: 32
  - .args:
      - .offset:         0
        .size:           8
        .value_kind:     by_value
      - .offset:         8
        .size:           4
        .value_kind:     by_value
      - .offset:         16
        .size:           8
        .value_kind:     by_value
      - .actual_access:  read_only
        .address_space:  global
        .offset:         24
        .size:           8
        .value_kind:     global_buffer
      - .actual_access:  read_only
        .address_space:  global
        .offset:         32
        .size:           8
        .value_kind:     global_buffer
      - .actual_access:  read_only
        .address_space:  global
        .offset:         40
        .size:           8
        .value_kind:     global_buffer
      - .actual_access:  read_only
        .address_space:  global
        .offset:         48
        .size:           8
        .value_kind:     global_buffer
      - .address_space:  global
        .offset:         56
        .size:           8
        .value_kind:     global_buffer
      - .actual_access:  write_only
        .address_space:  global
        .offset:         64
        .size:           8
        .value_kind:     global_buffer
      - .actual_access:  write_only
        .address_space:  global
        .offset:         72
        .size:           8
        .value_kind:     global_buffer
      - .offset:         80
        .size:           4
        .value_kind:     by_value
      - .offset:         84
        .size:           1
        .value_kind:     by_value
    .group_segment_fixed_size: 3072
    .kernarg_segment_align: 8
    .kernarg_segment_size: 88
    .language:       OpenCL C
    .language_version:
      - 2
      - 0
    .max_flat_workgroup_size: 256
    .name:           _ZN9rocsparseL22coomvn_segmented_loopsILj256Eif21rocsparse_complex_numIfES2_S2_EEvlT0_NS_24const_host_device_scalarIT4_EEPKS3_S8_PKT1_PKT2_PT3_PS3_PS5_21rocsparse_index_base_b
    .private_segment_fixed_size: 0
    .sgpr_count:     34
    .sgpr_spill_count: 0
    .symbol:         _ZN9rocsparseL22coomvn_segmented_loopsILj256Eif21rocsparse_complex_numIfES2_S2_EEvlT0_NS_24const_host_device_scalarIT4_EEPKS3_S8_PKT1_PKT2_PT3_PS3_PS5_21rocsparse_index_base_b.kd
    .uniform_work_group_size: 1
    .uses_dynamic_stack: false
    .vgpr_count:     42
    .vgpr_spill_count: 0
    .wavefront_size: 32
  - .args:
      - .offset:         0
        .size:           4
        .value_kind:     by_value
      - .offset:         8
        .size:           8
        .value_kind:     by_value
      - .offset:         16
        .size:           8
        .value_kind:     by_value
      - .actual_access:  read_only
        .address_space:  global
        .offset:         24
        .size:           8
        .value_kind:     global_buffer
      - .actual_access:  read_only
        .address_space:  global
        .offset:         32
        .size:           8
        .value_kind:     global_buffer
      - .actual_access:  read_only
        .address_space:  global
        .offset:         40
        .size:           8
        .value_kind:     global_buffer
      - .actual_access:  read_only
        .address_space:  global
        .offset:         48
        .size:           8
        .value_kind:     global_buffer
      - .address_space:  global
        .offset:         56
        .size:           8
        .value_kind:     global_buffer
      - .offset:         64
        .size:           4
        .value_kind:     by_value
      - .offset:         68
        .size:           1
        .value_kind:     by_value
      - .offset:         72
        .size:           4
        .value_kind:     hidden_block_count_x
      - .offset:         76
        .size:           4
        .value_kind:     hidden_block_count_y
      - .offset:         80
        .size:           4
        .value_kind:     hidden_block_count_z
      - .offset:         84
        .size:           2
        .value_kind:     hidden_group_size_x
      - .offset:         86
        .size:           2
        .value_kind:     hidden_group_size_y
      - .offset:         88
        .size:           2
        .value_kind:     hidden_group_size_z
      - .offset:         90
        .size:           2
        .value_kind:     hidden_remainder_x
      - .offset:         92
        .size:           2
        .value_kind:     hidden_remainder_y
      - .offset:         94
        .size:           2
        .value_kind:     hidden_remainder_z
      - .offset:         112
        .size:           8
        .value_kind:     hidden_global_offset_x
      - .offset:         120
        .size:           8
        .value_kind:     hidden_global_offset_y
      - .offset:         128
        .size:           8
        .value_kind:     hidden_global_offset_z
      - .offset:         136
        .size:           2
        .value_kind:     hidden_grid_dims
    .group_segment_fixed_size: 0
    .kernarg_segment_align: 8
    .kernarg_segment_size: 328
    .language:       OpenCL C
    .language_version:
      - 2
      - 0
    .max_flat_workgroup_size: 1024
    .name:           _ZN9rocsparseL13coomvt_kernelILj1024Eif21rocsparse_complex_numIfES2_S2_EEv20rocsparse_operation_lNS_24const_host_device_scalarIT4_EEPKT0_S9_PKT1_PKT2_PT3_21rocsparse_index_base_b
    .private_segment_fixed_size: 0
    .sgpr_count:     22
    .sgpr_spill_count: 0
    .symbol:         _ZN9rocsparseL13coomvt_kernelILj1024Eif21rocsparse_complex_numIfES2_S2_EEv20rocsparse_operation_lNS_24const_host_device_scalarIT4_EEPKT0_S9_PKT1_PKT2_PT3_21rocsparse_index_base_b.kd
    .uniform_work_group_size: 1
    .uses_dynamic_stack: false
    .vgpr_count:     10
    .vgpr_spill_count: 0
    .wavefront_size: 32
  - .args:
      - .offset:         0
        .size:           8
        .value_kind:     by_value
      - .offset:         8
        .size:           8
        .value_kind:     by_value
      - .actual_access:  read_only
        .address_space:  global
        .offset:         16
        .size:           8
        .value_kind:     global_buffer
      - .actual_access:  read_only
        .address_space:  global
        .offset:         24
        .size:           8
        .value_kind:     global_buffer
      - .actual_access:  read_only
        .address_space:  global
        .offset:         32
        .size:           8
        .value_kind:     global_buffer
      - .actual_access:  read_only
        .address_space:  global
        .offset:         40
        .size:           8
        .value_kind:     global_buffer
      - .address_space:  global
        .offset:         48
        .size:           8
        .value_kind:     global_buffer
      - .offset:         56
        .size:           4
        .value_kind:     by_value
      - .offset:         60
        .size:           1
        .value_kind:     by_value
    .group_segment_fixed_size: 3072
    .kernarg_segment_align: 8
    .kernarg_segment_size: 64
    .language:       OpenCL C
    .language_version:
      - 2
      - 0
    .max_flat_workgroup_size: 256
    .name:           _ZN9rocsparseL19coomvn_atomic_loopsILj256ELj1Eif21rocsparse_complex_numIfES2_S2_EEvlNS_24const_host_device_scalarIT5_EEPKT1_S8_PKT2_PKT3_PT4_21rocsparse_index_base_b
    .private_segment_fixed_size: 0
    .sgpr_count:     22
    .sgpr_spill_count: 0
    .symbol:         _ZN9rocsparseL19coomvn_atomic_loopsILj256ELj1Eif21rocsparse_complex_numIfES2_S2_EEvlNS_24const_host_device_scalarIT5_EEPKT1_S8_PKT2_PKT3_PT4_21rocsparse_index_base_b.kd
    .uniform_work_group_size: 1
    .uses_dynamic_stack: false
    .vgpr_count:     15
    .vgpr_spill_count: 0
    .wavefront_size: 32
  - .args:
      - .offset:         0
        .size:           8
        .value_kind:     by_value
      - .offset:         8
        .size:           8
        .value_kind:     by_value
      - .actual_access:  read_only
        .address_space:  global
        .offset:         16
        .size:           8
        .value_kind:     global_buffer
      - .actual_access:  read_only
        .address_space:  global
        .offset:         24
        .size:           8
        .value_kind:     global_buffer
      - .actual_access:  read_only
        .address_space:  global
        .offset:         32
        .size:           8
        .value_kind:     global_buffer
      - .actual_access:  read_only
        .address_space:  global
        .offset:         40
        .size:           8
        .value_kind:     global_buffer
      - .address_space:  global
        .offset:         48
        .size:           8
        .value_kind:     global_buffer
      - .offset:         56
        .size:           4
        .value_kind:     by_value
      - .offset:         60
        .size:           1
        .value_kind:     by_value
    .group_segment_fixed_size: 3072
    .kernarg_segment_align: 8
    .kernarg_segment_size: 64
    .language:       OpenCL C
    .language_version:
      - 2
      - 0
    .max_flat_workgroup_size: 256
    .name:           _ZN9rocsparseL19coomvn_atomic_loopsILj256ELj2Eif21rocsparse_complex_numIfES2_S2_EEvlNS_24const_host_device_scalarIT5_EEPKT1_S8_PKT2_PKT3_PT4_21rocsparse_index_base_b
    .private_segment_fixed_size: 0
    .sgpr_count:     28
    .sgpr_spill_count: 0
    .symbol:         _ZN9rocsparseL19coomvn_atomic_loopsILj256ELj2Eif21rocsparse_complex_numIfES2_S2_EEvlNS_24const_host_device_scalarIT5_EEPKT1_S8_PKT2_PKT3_PT4_21rocsparse_index_base_b.kd
    .uniform_work_group_size: 1
    .uses_dynamic_stack: false
    .vgpr_count:     25
    .vgpr_spill_count: 0
    .wavefront_size: 32
  - .args:
      - .offset:         0
        .size:           8
        .value_kind:     by_value
      - .offset:         8
        .size:           8
        .value_kind:     by_value
      - .offset:         16
        .size:           8
        .value_kind:     by_value
      - .actual_access:  read_only
        .address_space:  global
        .offset:         24
        .size:           8
        .value_kind:     global_buffer
      - .actual_access:  read_only
        .address_space:  global
        .offset:         32
        .size:           8
        .value_kind:     global_buffer
      - .actual_access:  read_only
        .address_space:  global
        .offset:         40
        .size:           8
        .value_kind:     global_buffer
      - .actual_access:  read_only
        .address_space:  global
        .offset:         48
        .size:           8
        .value_kind:     global_buffer
      - .address_space:  global
        .offset:         56
        .size:           8
        .value_kind:     global_buffer
      - .actual_access:  write_only
        .address_space:  global
        .offset:         64
        .size:           8
        .value_kind:     global_buffer
      - .actual_access:  write_only
        .address_space:  global
        .offset:         72
        .size:           8
        .value_kind:     global_buffer
      - .offset:         80
        .size:           4
        .value_kind:     by_value
      - .offset:         84
        .size:           1
        .value_kind:     by_value
    .group_segment_fixed_size: 4096
    .kernarg_segment_align: 8
    .kernarg_segment_size: 88
    .language:       OpenCL C
    .language_version:
      - 2
      - 0
    .max_flat_workgroup_size: 256
    .name:           _ZN9rocsparseL22coomvn_segmented_loopsILj256Elf21rocsparse_complex_numIfES2_S2_EEvlT0_NS_24const_host_device_scalarIT4_EEPKS3_S8_PKT1_PKT2_PT3_PS3_PS5_21rocsparse_index_base_b
    .private_segment_fixed_size: 0
    .sgpr_count:     40
    .sgpr_spill_count: 0
    .symbol:         _ZN9rocsparseL22coomvn_segmented_loopsILj256Elf21rocsparse_complex_numIfES2_S2_EEvlT0_NS_24const_host_device_scalarIT4_EEPKS3_S8_PKT1_PKT2_PT3_PS3_PS5_21rocsparse_index_base_b.kd
    .uniform_work_group_size: 1
    .uses_dynamic_stack: false
    .vgpr_count:     46
    .vgpr_spill_count: 0
    .wavefront_size: 32
  - .args:
      - .offset:         0
        .size:           4
        .value_kind:     by_value
      - .offset:         8
        .size:           8
        .value_kind:     by_value
      - .offset:         16
        .size:           8
        .value_kind:     by_value
      - .actual_access:  read_only
        .address_space:  global
        .offset:         24
        .size:           8
        .value_kind:     global_buffer
      - .actual_access:  read_only
        .address_space:  global
        .offset:         32
        .size:           8
        .value_kind:     global_buffer
      - .actual_access:  read_only
        .address_space:  global
        .offset:         40
        .size:           8
        .value_kind:     global_buffer
      - .actual_access:  read_only
        .address_space:  global
        .offset:         48
        .size:           8
        .value_kind:     global_buffer
      - .address_space:  global
        .offset:         56
        .size:           8
        .value_kind:     global_buffer
      - .offset:         64
        .size:           4
        .value_kind:     by_value
      - .offset:         68
        .size:           1
        .value_kind:     by_value
      - .offset:         72
        .size:           4
        .value_kind:     hidden_block_count_x
      - .offset:         76
        .size:           4
        .value_kind:     hidden_block_count_y
      - .offset:         80
        .size:           4
        .value_kind:     hidden_block_count_z
      - .offset:         84
        .size:           2
        .value_kind:     hidden_group_size_x
      - .offset:         86
        .size:           2
        .value_kind:     hidden_group_size_y
      - .offset:         88
        .size:           2
        .value_kind:     hidden_group_size_z
      - .offset:         90
        .size:           2
        .value_kind:     hidden_remainder_x
      - .offset:         92
        .size:           2
        .value_kind:     hidden_remainder_y
      - .offset:         94
        .size:           2
        .value_kind:     hidden_remainder_z
      - .offset:         112
        .size:           8
        .value_kind:     hidden_global_offset_x
      - .offset:         120
        .size:           8
        .value_kind:     hidden_global_offset_y
      - .offset:         128
        .size:           8
        .value_kind:     hidden_global_offset_z
      - .offset:         136
        .size:           2
        .value_kind:     hidden_grid_dims
    .group_segment_fixed_size: 0
    .kernarg_segment_align: 8
    .kernarg_segment_size: 328
    .language:       OpenCL C
    .language_version:
      - 2
      - 0
    .max_flat_workgroup_size: 1024
    .name:           _ZN9rocsparseL13coomvt_kernelILj1024Elf21rocsparse_complex_numIfES2_S2_EEv20rocsparse_operation_lNS_24const_host_device_scalarIT4_EEPKT0_S9_PKT1_PKT2_PT3_21rocsparse_index_base_b
    .private_segment_fixed_size: 0
    .sgpr_count:     22
    .sgpr_spill_count: 0
    .symbol:         _ZN9rocsparseL13coomvt_kernelILj1024Elf21rocsparse_complex_numIfES2_S2_EEv20rocsparse_operation_lNS_24const_host_device_scalarIT4_EEPKT0_S9_PKT1_PKT2_PT3_21rocsparse_index_base_b.kd
    .uniform_work_group_size: 1
    .uses_dynamic_stack: false
    .vgpr_count:     11
    .vgpr_spill_count: 0
    .wavefront_size: 32
  - .args:
      - .offset:         0
        .size:           8
        .value_kind:     by_value
      - .offset:         8
        .size:           8
        .value_kind:     by_value
      - .actual_access:  read_only
        .address_space:  global
        .offset:         16
        .size:           8
        .value_kind:     global_buffer
      - .actual_access:  read_only
        .address_space:  global
        .offset:         24
        .size:           8
        .value_kind:     global_buffer
      - .actual_access:  read_only
        .address_space:  global
        .offset:         32
        .size:           8
        .value_kind:     global_buffer
      - .actual_access:  read_only
        .address_space:  global
        .offset:         40
        .size:           8
        .value_kind:     global_buffer
      - .address_space:  global
        .offset:         48
        .size:           8
        .value_kind:     global_buffer
      - .offset:         56
        .size:           4
        .value_kind:     by_value
      - .offset:         60
        .size:           1
        .value_kind:     by_value
    .group_segment_fixed_size: 4096
    .kernarg_segment_align: 8
    .kernarg_segment_size: 64
    .language:       OpenCL C
    .language_version:
      - 2
      - 0
    .max_flat_workgroup_size: 256
    .name:           _ZN9rocsparseL19coomvn_atomic_loopsILj256ELj1Elf21rocsparse_complex_numIfES2_S2_EEvlNS_24const_host_device_scalarIT5_EEPKT1_S8_PKT2_PKT3_PT4_21rocsparse_index_base_b
    .private_segment_fixed_size: 0
    .sgpr_count:     22
    .sgpr_spill_count: 0
    .symbol:         _ZN9rocsparseL19coomvn_atomic_loopsILj256ELj1Elf21rocsparse_complex_numIfES2_S2_EEvlNS_24const_host_device_scalarIT5_EEPKT1_S8_PKT2_PKT3_PT4_21rocsparse_index_base_b.kd
    .uniform_work_group_size: 1
    .uses_dynamic_stack: false
    .vgpr_count:     16
    .vgpr_spill_count: 0
    .wavefront_size: 32
  - .args:
      - .offset:         0
        .size:           8
        .value_kind:     by_value
      - .offset:         8
        .size:           8
        .value_kind:     by_value
      - .actual_access:  read_only
        .address_space:  global
        .offset:         16
        .size:           8
        .value_kind:     global_buffer
      - .actual_access:  read_only
        .address_space:  global
        .offset:         24
        .size:           8
        .value_kind:     global_buffer
      - .actual_access:  read_only
        .address_space:  global
        .offset:         32
        .size:           8
        .value_kind:     global_buffer
      - .actual_access:  read_only
        .address_space:  global
        .offset:         40
        .size:           8
        .value_kind:     global_buffer
      - .address_space:  global
        .offset:         48
        .size:           8
        .value_kind:     global_buffer
      - .offset:         56
        .size:           4
        .value_kind:     by_value
      - .offset:         60
        .size:           1
        .value_kind:     by_value
    .group_segment_fixed_size: 4096
    .kernarg_segment_align: 8
    .kernarg_segment_size: 64
    .language:       OpenCL C
    .language_version:
      - 2
      - 0
    .max_flat_workgroup_size: 256
    .name:           _ZN9rocsparseL19coomvn_atomic_loopsILj256ELj2Elf21rocsparse_complex_numIfES2_S2_EEvlNS_24const_host_device_scalarIT5_EEPKT1_S8_PKT2_PKT3_PT4_21rocsparse_index_base_b
    .private_segment_fixed_size: 0
    .sgpr_count:     28
    .sgpr_spill_count: 0
    .symbol:         _ZN9rocsparseL19coomvn_atomic_loopsILj256ELj2Elf21rocsparse_complex_numIfES2_S2_EEvlNS_24const_host_device_scalarIT5_EEPKT1_S8_PKT2_PKT3_PT4_21rocsparse_index_base_b.kd
    .uniform_work_group_size: 1
    .uses_dynamic_stack: false
    .vgpr_count:     26
    .vgpr_spill_count: 0
    .wavefront_size: 32
  - .args:
      - .offset:         0
        .size:           8
        .value_kind:     by_value
      - .offset:         8
        .size:           4
        .value_kind:     by_value
      - .offset:         16
        .size:           16
        .value_kind:     by_value
      - .actual_access:  read_only
        .address_space:  global
        .offset:         32
        .size:           8
        .value_kind:     global_buffer
      - .actual_access:  read_only
        .address_space:  global
        .offset:         40
        .size:           8
        .value_kind:     global_buffer
      - .actual_access:  read_only
        .address_space:  global
        .offset:         48
        .size:           8
        .value_kind:     global_buffer
      - .actual_access:  read_only
        .address_space:  global
        .offset:         56
        .size:           8
        .value_kind:     global_buffer
      - .address_space:  global
        .offset:         64
        .size:           8
        .value_kind:     global_buffer
      - .actual_access:  write_only
        .address_space:  global
        .offset:         72
        .size:           8
        .value_kind:     global_buffer
      - .actual_access:  write_only
        .address_space:  global
        .offset:         80
        .size:           8
        .value_kind:     global_buffer
      - .offset:         88
        .size:           4
        .value_kind:     by_value
      - .offset:         92
        .size:           1
        .value_kind:     by_value
    .group_segment_fixed_size: 5120
    .kernarg_segment_align: 8
    .kernarg_segment_size: 96
    .language:       OpenCL C
    .language_version:
      - 2
      - 0
    .max_flat_workgroup_size: 256
    .name:           _ZN9rocsparseL22coomvn_segmented_loopsILj256Eid21rocsparse_complex_numIdES2_S2_EEvlT0_NS_24const_host_device_scalarIT4_EEPKS3_S8_PKT1_PKT2_PT3_PS3_PS5_21rocsparse_index_base_b
    .private_segment_fixed_size: 0
    .sgpr_count:     32
    .sgpr_spill_count: 0
    .symbol:         _ZN9rocsparseL22coomvn_segmented_loopsILj256Eid21rocsparse_complex_numIdES2_S2_EEvlT0_NS_24const_host_device_scalarIT4_EEPKS3_S8_PKT1_PKT2_PT3_PS3_PS5_21rocsparse_index_base_b.kd
    .uniform_work_group_size: 1
    .uses_dynamic_stack: false
    .vgpr_count:     46
    .vgpr_spill_count: 0
    .wavefront_size: 32
  - .args:
      - .offset:         0
        .size:           4
        .value_kind:     by_value
      - .offset:         8
        .size:           8
        .value_kind:     by_value
      - .offset:         16
        .size:           16
        .value_kind:     by_value
      - .actual_access:  read_only
        .address_space:  global
        .offset:         32
        .size:           8
        .value_kind:     global_buffer
      - .actual_access:  read_only
        .address_space:  global
        .offset:         40
        .size:           8
        .value_kind:     global_buffer
      - .actual_access:  read_only
        .address_space:  global
        .offset:         48
        .size:           8
        .value_kind:     global_buffer
      - .actual_access:  read_only
        .address_space:  global
        .offset:         56
        .size:           8
        .value_kind:     global_buffer
      - .address_space:  global
        .offset:         64
        .size:           8
        .value_kind:     global_buffer
      - .offset:         72
        .size:           4
        .value_kind:     by_value
      - .offset:         76
        .size:           1
        .value_kind:     by_value
      - .offset:         80
        .size:           4
        .value_kind:     hidden_block_count_x
      - .offset:         84
        .size:           4
        .value_kind:     hidden_block_count_y
      - .offset:         88
        .size:           4
        .value_kind:     hidden_block_count_z
      - .offset:         92
        .size:           2
        .value_kind:     hidden_group_size_x
      - .offset:         94
        .size:           2
        .value_kind:     hidden_group_size_y
      - .offset:         96
        .size:           2
        .value_kind:     hidden_group_size_z
      - .offset:         98
        .size:           2
        .value_kind:     hidden_remainder_x
      - .offset:         100
        .size:           2
        .value_kind:     hidden_remainder_y
      - .offset:         102
        .size:           2
        .value_kind:     hidden_remainder_z
      - .offset:         120
        .size:           8
        .value_kind:     hidden_global_offset_x
      - .offset:         128
        .size:           8
        .value_kind:     hidden_global_offset_y
      - .offset:         136
        .size:           8
        .value_kind:     hidden_global_offset_z
      - .offset:         144
        .size:           2
        .value_kind:     hidden_grid_dims
    .group_segment_fixed_size: 0
    .kernarg_segment_align: 8
    .kernarg_segment_size: 336
    .language:       OpenCL C
    .language_version:
      - 2
      - 0
    .max_flat_workgroup_size: 1024
    .name:           _ZN9rocsparseL13coomvt_kernelILj1024Eid21rocsparse_complex_numIdES2_S2_EEv20rocsparse_operation_lNS_24const_host_device_scalarIT4_EEPKT0_S9_PKT1_PKT2_PT3_21rocsparse_index_base_b
    .private_segment_fixed_size: 0
    .sgpr_count:     22
    .sgpr_spill_count: 0
    .symbol:         _ZN9rocsparseL13coomvt_kernelILj1024Eid21rocsparse_complex_numIdES2_S2_EEv20rocsparse_operation_lNS_24const_host_device_scalarIT4_EEPKT0_S9_PKT1_PKT2_PT3_21rocsparse_index_base_b.kd
    .uniform_work_group_size: 1
    .uses_dynamic_stack: false
    .vgpr_count:     15
    .vgpr_spill_count: 0
    .wavefront_size: 32
  - .args:
      - .offset:         0
        .size:           8
        .value_kind:     by_value
      - .offset:         8
        .size:           16
        .value_kind:     by_value
      - .actual_access:  read_only
        .address_space:  global
        .offset:         24
        .size:           8
        .value_kind:     global_buffer
      - .actual_access:  read_only
        .address_space:  global
        .offset:         32
        .size:           8
        .value_kind:     global_buffer
      - .actual_access:  read_only
        .address_space:  global
        .offset:         40
        .size:           8
        .value_kind:     global_buffer
      - .actual_access:  read_only
        .address_space:  global
        .offset:         48
        .size:           8
        .value_kind:     global_buffer
      - .address_space:  global
        .offset:         56
        .size:           8
        .value_kind:     global_buffer
      - .offset:         64
        .size:           4
        .value_kind:     by_value
      - .offset:         68
        .size:           1
        .value_kind:     by_value
    .group_segment_fixed_size: 5120
    .kernarg_segment_align: 8
    .kernarg_segment_size: 72
    .language:       OpenCL C
    .language_version:
      - 2
      - 0
    .max_flat_workgroup_size: 256
    .name:           _ZN9rocsparseL19coomvn_atomic_loopsILj256ELj1Eid21rocsparse_complex_numIdES2_S2_EEvlNS_24const_host_device_scalarIT5_EEPKT1_S8_PKT2_PKT3_PT4_21rocsparse_index_base_b
    .private_segment_fixed_size: 0
    .sgpr_count:     22
    .sgpr_spill_count: 0
    .symbol:         _ZN9rocsparseL19coomvn_atomic_loopsILj256ELj1Eid21rocsparse_complex_numIdES2_S2_EEvlNS_24const_host_device_scalarIT5_EEPKT1_S8_PKT2_PKT3_PT4_21rocsparse_index_base_b.kd
    .uniform_work_group_size: 1
    .uses_dynamic_stack: false
    .vgpr_count:     18
    .vgpr_spill_count: 0
    .wavefront_size: 32
  - .args:
      - .offset:         0
        .size:           8
        .value_kind:     by_value
      - .offset:         8
        .size:           16
        .value_kind:     by_value
      - .actual_access:  read_only
        .address_space:  global
        .offset:         24
        .size:           8
        .value_kind:     global_buffer
      - .actual_access:  read_only
        .address_space:  global
        .offset:         32
        .size:           8
        .value_kind:     global_buffer
      - .actual_access:  read_only
        .address_space:  global
        .offset:         40
        .size:           8
        .value_kind:     global_buffer
      - .actual_access:  read_only
        .address_space:  global
        .offset:         48
        .size:           8
        .value_kind:     global_buffer
      - .address_space:  global
        .offset:         56
        .size:           8
        .value_kind:     global_buffer
      - .offset:         64
        .size:           4
        .value_kind:     by_value
      - .offset:         68
        .size:           1
        .value_kind:     by_value
    .group_segment_fixed_size: 5120
    .kernarg_segment_align: 8
    .kernarg_segment_size: 72
    .language:       OpenCL C
    .language_version:
      - 2
      - 0
    .max_flat_workgroup_size: 256
    .name:           _ZN9rocsparseL19coomvn_atomic_loopsILj256ELj2Eid21rocsparse_complex_numIdES2_S2_EEvlNS_24const_host_device_scalarIT5_EEPKT1_S8_PKT2_PKT3_PT4_21rocsparse_index_base_b
    .private_segment_fixed_size: 0
    .sgpr_count:     28
    .sgpr_spill_count: 0
    .symbol:         _ZN9rocsparseL19coomvn_atomic_loopsILj256ELj2Eid21rocsparse_complex_numIdES2_S2_EEvlNS_24const_host_device_scalarIT5_EEPKT1_S8_PKT2_PKT3_PT4_21rocsparse_index_base_b.kd
    .uniform_work_group_size: 1
    .uses_dynamic_stack: false
    .vgpr_count:     34
    .vgpr_spill_count: 0
    .wavefront_size: 32
  - .args:
      - .offset:         0
        .size:           8
        .value_kind:     by_value
      - .offset:         8
        .size:           8
        .value_kind:     by_value
      - .offset:         16
        .size:           16
        .value_kind:     by_value
      - .actual_access:  read_only
        .address_space:  global
        .offset:         32
        .size:           8
        .value_kind:     global_buffer
      - .actual_access:  read_only
        .address_space:  global
        .offset:         40
        .size:           8
        .value_kind:     global_buffer
      - .actual_access:  read_only
        .address_space:  global
        .offset:         48
        .size:           8
        .value_kind:     global_buffer
      - .actual_access:  read_only
        .address_space:  global
        .offset:         56
        .size:           8
        .value_kind:     global_buffer
      - .address_space:  global
        .offset:         64
        .size:           8
        .value_kind:     global_buffer
      - .actual_access:  write_only
        .address_space:  global
        .offset:         72
        .size:           8
        .value_kind:     global_buffer
      - .actual_access:  write_only
        .address_space:  global
        .offset:         80
        .size:           8
        .value_kind:     global_buffer
      - .offset:         88
        .size:           4
        .value_kind:     by_value
      - .offset:         92
        .size:           1
        .value_kind:     by_value
    .group_segment_fixed_size: 6144
    .kernarg_segment_align: 8
    .kernarg_segment_size: 96
    .language:       OpenCL C
    .language_version:
      - 2
      - 0
    .max_flat_workgroup_size: 256
    .name:           _ZN9rocsparseL22coomvn_segmented_loopsILj256Eld21rocsparse_complex_numIdES2_S2_EEvlT0_NS_24const_host_device_scalarIT4_EEPKS3_S8_PKT1_PKT2_PT3_PS3_PS5_21rocsparse_index_base_b
    .private_segment_fixed_size: 0
    .sgpr_count:     38
    .sgpr_spill_count: 0
    .symbol:         _ZN9rocsparseL22coomvn_segmented_loopsILj256Eld21rocsparse_complex_numIdES2_S2_EEvlT0_NS_24const_host_device_scalarIT4_EEPKS3_S8_PKT1_PKT2_PT3_PS3_PS5_21rocsparse_index_base_b.kd
    .uniform_work_group_size: 1
    .uses_dynamic_stack: false
    .vgpr_count:     48
    .vgpr_spill_count: 0
    .wavefront_size: 32
  - .args:
      - .offset:         0
        .size:           4
        .value_kind:     by_value
      - .offset:         8
        .size:           8
        .value_kind:     by_value
      - .offset:         16
        .size:           16
        .value_kind:     by_value
      - .actual_access:  read_only
        .address_space:  global
        .offset:         32
        .size:           8
        .value_kind:     global_buffer
      - .actual_access:  read_only
        .address_space:  global
        .offset:         40
        .size:           8
        .value_kind:     global_buffer
      - .actual_access:  read_only
        .address_space:  global
        .offset:         48
        .size:           8
        .value_kind:     global_buffer
      - .actual_access:  read_only
        .address_space:  global
        .offset:         56
        .size:           8
        .value_kind:     global_buffer
      - .address_space:  global
        .offset:         64
        .size:           8
        .value_kind:     global_buffer
      - .offset:         72
        .size:           4
        .value_kind:     by_value
      - .offset:         76
        .size:           1
        .value_kind:     by_value
      - .offset:         80
        .size:           4
        .value_kind:     hidden_block_count_x
      - .offset:         84
        .size:           4
        .value_kind:     hidden_block_count_y
      - .offset:         88
        .size:           4
        .value_kind:     hidden_block_count_z
      - .offset:         92
        .size:           2
        .value_kind:     hidden_group_size_x
      - .offset:         94
        .size:           2
        .value_kind:     hidden_group_size_y
      - .offset:         96
        .size:           2
        .value_kind:     hidden_group_size_z
      - .offset:         98
        .size:           2
        .value_kind:     hidden_remainder_x
      - .offset:         100
        .size:           2
        .value_kind:     hidden_remainder_y
      - .offset:         102
        .size:           2
        .value_kind:     hidden_remainder_z
      - .offset:         120
        .size:           8
        .value_kind:     hidden_global_offset_x
      - .offset:         128
        .size:           8
        .value_kind:     hidden_global_offset_y
      - .offset:         136
        .size:           8
        .value_kind:     hidden_global_offset_z
      - .offset:         144
        .size:           2
        .value_kind:     hidden_grid_dims
    .group_segment_fixed_size: 0
    .kernarg_segment_align: 8
    .kernarg_segment_size: 336
    .language:       OpenCL C
    .language_version:
      - 2
      - 0
    .max_flat_workgroup_size: 1024
    .name:           _ZN9rocsparseL13coomvt_kernelILj1024Eld21rocsparse_complex_numIdES2_S2_EEv20rocsparse_operation_lNS_24const_host_device_scalarIT4_EEPKT0_S9_PKT1_PKT2_PT3_21rocsparse_index_base_b
    .private_segment_fixed_size: 0
    .sgpr_count:     22
    .sgpr_spill_count: 0
    .symbol:         _ZN9rocsparseL13coomvt_kernelILj1024Eld21rocsparse_complex_numIdES2_S2_EEv20rocsparse_operation_lNS_24const_host_device_scalarIT4_EEPKT0_S9_PKT1_PKT2_PT3_21rocsparse_index_base_b.kd
    .uniform_work_group_size: 1
    .uses_dynamic_stack: false
    .vgpr_count:     16
    .vgpr_spill_count: 0
    .wavefront_size: 32
  - .args:
      - .offset:         0
        .size:           8
        .value_kind:     by_value
      - .offset:         8
        .size:           16
        .value_kind:     by_value
      - .actual_access:  read_only
        .address_space:  global
        .offset:         24
        .size:           8
        .value_kind:     global_buffer
      - .actual_access:  read_only
        .address_space:  global
        .offset:         32
        .size:           8
        .value_kind:     global_buffer
      - .actual_access:  read_only
        .address_space:  global
        .offset:         40
        .size:           8
        .value_kind:     global_buffer
      - .actual_access:  read_only
        .address_space:  global
        .offset:         48
        .size:           8
        .value_kind:     global_buffer
      - .address_space:  global
        .offset:         56
        .size:           8
        .value_kind:     global_buffer
      - .offset:         64
        .size:           4
        .value_kind:     by_value
      - .offset:         68
        .size:           1
        .value_kind:     by_value
    .group_segment_fixed_size: 6144
    .kernarg_segment_align: 8
    .kernarg_segment_size: 72
    .language:       OpenCL C
    .language_version:
      - 2
      - 0
    .max_flat_workgroup_size: 256
    .name:           _ZN9rocsparseL19coomvn_atomic_loopsILj256ELj1Eld21rocsparse_complex_numIdES2_S2_EEvlNS_24const_host_device_scalarIT5_EEPKT1_S8_PKT2_PKT3_PT4_21rocsparse_index_base_b
    .private_segment_fixed_size: 0
    .sgpr_count:     22
    .sgpr_spill_count: 0
    .symbol:         _ZN9rocsparseL19coomvn_atomic_loopsILj256ELj1Eld21rocsparse_complex_numIdES2_S2_EEvlNS_24const_host_device_scalarIT5_EEPKT1_S8_PKT2_PKT3_PT4_21rocsparse_index_base_b.kd
    .uniform_work_group_size: 1
    .uses_dynamic_stack: false
    .vgpr_count:     18
    .vgpr_spill_count: 0
    .wavefront_size: 32
  - .args:
      - .offset:         0
        .size:           8
        .value_kind:     by_value
      - .offset:         8
        .size:           16
        .value_kind:     by_value
      - .actual_access:  read_only
        .address_space:  global
        .offset:         24
        .size:           8
        .value_kind:     global_buffer
      - .actual_access:  read_only
        .address_space:  global
        .offset:         32
        .size:           8
        .value_kind:     global_buffer
      - .actual_access:  read_only
        .address_space:  global
        .offset:         40
        .size:           8
        .value_kind:     global_buffer
      - .actual_access:  read_only
        .address_space:  global
        .offset:         48
        .size:           8
        .value_kind:     global_buffer
      - .address_space:  global
        .offset:         56
        .size:           8
        .value_kind:     global_buffer
      - .offset:         64
        .size:           4
        .value_kind:     by_value
      - .offset:         68
        .size:           1
        .value_kind:     by_value
    .group_segment_fixed_size: 6144
    .kernarg_segment_align: 8
    .kernarg_segment_size: 72
    .language:       OpenCL C
    .language_version:
      - 2
      - 0
    .max_flat_workgroup_size: 256
    .name:           _ZN9rocsparseL19coomvn_atomic_loopsILj256ELj2Eld21rocsparse_complex_numIdES2_S2_EEvlNS_24const_host_device_scalarIT5_EEPKT1_S8_PKT2_PKT3_PT4_21rocsparse_index_base_b
    .private_segment_fixed_size: 0
    .sgpr_count:     28
    .sgpr_spill_count: 0
    .symbol:         _ZN9rocsparseL19coomvn_atomic_loopsILj256ELj2Eld21rocsparse_complex_numIdES2_S2_EEvlNS_24const_host_device_scalarIT5_EEPKT1_S8_PKT2_PKT3_PT4_21rocsparse_index_base_b.kd
    .uniform_work_group_size: 1
    .uses_dynamic_stack: false
    .vgpr_count:     31
    .vgpr_spill_count: 0
    .wavefront_size: 32
  - .args:
      - .offset:         0
        .size:           8
        .value_kind:     by_value
      - .offset:         8
        .size:           4
        .value_kind:     by_value
      - .offset:         16
        .size:           8
        .value_kind:     by_value
      - .actual_access:  read_only
        .address_space:  global
        .offset:         24
        .size:           8
        .value_kind:     global_buffer
      - .actual_access:  read_only
        .address_space:  global
        .offset:         32
        .size:           8
        .value_kind:     global_buffer
      - .actual_access:  read_only
        .address_space:  global
        .offset:         40
        .size:           8
        .value_kind:     global_buffer
      - .actual_access:  read_only
        .address_space:  global
        .offset:         48
        .size:           8
        .value_kind:     global_buffer
      - .address_space:  global
        .offset:         56
        .size:           8
        .value_kind:     global_buffer
      - .actual_access:  write_only
        .address_space:  global
        .offset:         64
        .size:           8
        .value_kind:     global_buffer
      - .actual_access:  write_only
        .address_space:  global
        .offset:         72
        .size:           8
        .value_kind:     global_buffer
      - .offset:         80
        .size:           4
        .value_kind:     by_value
      - .offset:         84
        .size:           1
        .value_kind:     by_value
    .group_segment_fixed_size: 3072
    .kernarg_segment_align: 8
    .kernarg_segment_size: 88
    .language:       OpenCL C
    .language_version:
      - 2
      - 0
    .max_flat_workgroup_size: 256
    .name:           _ZN9rocsparseL22coomvn_segmented_loopsILj256EifdddEEvlT0_NS_24const_host_device_scalarIT4_EEPKS1_S6_PKT1_PKT2_PT3_PS1_PS3_21rocsparse_index_base_b
    .private_segment_fixed_size: 0
    .sgpr_count:     34
    .sgpr_spill_count: 0
    .symbol:         _ZN9rocsparseL22coomvn_segmented_loopsILj256EifdddEEvlT0_NS_24const_host_device_scalarIT4_EEPKS1_S6_PKT1_PKT2_PT3_PS1_PS3_21rocsparse_index_base_b.kd
    .uniform_work_group_size: 1
    .uses_dynamic_stack: false
    .vgpr_count:     38
    .vgpr_spill_count: 0
    .wavefront_size: 32
  - .args:
      - .offset:         0
        .size:           4
        .value_kind:     by_value
      - .offset:         8
        .size:           8
        .value_kind:     by_value
      - .offset:         16
        .size:           8
        .value_kind:     by_value
      - .actual_access:  read_only
        .address_space:  global
        .offset:         24
        .size:           8
        .value_kind:     global_buffer
      - .actual_access:  read_only
        .address_space:  global
        .offset:         32
        .size:           8
        .value_kind:     global_buffer
      - .actual_access:  read_only
        .address_space:  global
        .offset:         40
        .size:           8
        .value_kind:     global_buffer
      - .actual_access:  read_only
        .address_space:  global
        .offset:         48
        .size:           8
        .value_kind:     global_buffer
      - .address_space:  global
        .offset:         56
        .size:           8
        .value_kind:     global_buffer
      - .offset:         64
        .size:           4
        .value_kind:     by_value
      - .offset:         68
        .size:           1
        .value_kind:     by_value
      - .offset:         72
        .size:           4
        .value_kind:     hidden_block_count_x
      - .offset:         76
        .size:           4
        .value_kind:     hidden_block_count_y
      - .offset:         80
        .size:           4
        .value_kind:     hidden_block_count_z
      - .offset:         84
        .size:           2
        .value_kind:     hidden_group_size_x
      - .offset:         86
        .size:           2
        .value_kind:     hidden_group_size_y
      - .offset:         88
        .size:           2
        .value_kind:     hidden_group_size_z
      - .offset:         90
        .size:           2
        .value_kind:     hidden_remainder_x
      - .offset:         92
        .size:           2
        .value_kind:     hidden_remainder_y
      - .offset:         94
        .size:           2
        .value_kind:     hidden_remainder_z
      - .offset:         112
        .size:           8
        .value_kind:     hidden_global_offset_x
      - .offset:         120
        .size:           8
        .value_kind:     hidden_global_offset_y
      - .offset:         128
        .size:           8
        .value_kind:     hidden_global_offset_z
      - .offset:         136
        .size:           2
        .value_kind:     hidden_grid_dims
    .group_segment_fixed_size: 0
    .kernarg_segment_align: 8
    .kernarg_segment_size: 328
    .language:       OpenCL C
    .language_version:
      - 2
      - 0
    .max_flat_workgroup_size: 1024
    .name:           _ZN9rocsparseL13coomvt_kernelILj1024EifdddEEv20rocsparse_operation_lNS_24const_host_device_scalarIT4_EEPKT0_S7_PKT1_PKT2_PT3_21rocsparse_index_base_b
    .private_segment_fixed_size: 0
    .sgpr_count:     14
    .sgpr_spill_count: 0
    .symbol:         _ZN9rocsparseL13coomvt_kernelILj1024EifdddEEv20rocsparse_operation_lNS_24const_host_device_scalarIT4_EEPKT0_S7_PKT1_PKT2_PT3_21rocsparse_index_base_b.kd
    .uniform_work_group_size: 1
    .uses_dynamic_stack: false
    .vgpr_count:     8
    .vgpr_spill_count: 0
    .wavefront_size: 32
  - .args:
      - .offset:         0
        .size:           8
        .value_kind:     by_value
      - .offset:         8
        .size:           8
        .value_kind:     by_value
      - .actual_access:  read_only
        .address_space:  global
        .offset:         16
        .size:           8
        .value_kind:     global_buffer
      - .actual_access:  read_only
        .address_space:  global
        .offset:         24
        .size:           8
        .value_kind:     global_buffer
      - .actual_access:  read_only
        .address_space:  global
        .offset:         32
        .size:           8
        .value_kind:     global_buffer
      - .actual_access:  read_only
        .address_space:  global
        .offset:         40
        .size:           8
        .value_kind:     global_buffer
      - .address_space:  global
        .offset:         48
        .size:           8
        .value_kind:     global_buffer
      - .offset:         56
        .size:           4
        .value_kind:     by_value
      - .offset:         60
        .size:           1
        .value_kind:     by_value
    .group_segment_fixed_size: 3072
    .kernarg_segment_align: 8
    .kernarg_segment_size: 64
    .language:       OpenCL C
    .language_version:
      - 2
      - 0
    .max_flat_workgroup_size: 256
    .name:           _ZN9rocsparseL19coomvn_atomic_loopsILj256ELj1EifdddEEvlNS_24const_host_device_scalarIT5_EEPKT1_S6_PKT2_PKT3_PT4_21rocsparse_index_base_b
    .private_segment_fixed_size: 0
    .sgpr_count:     14
    .sgpr_spill_count: 0
    .symbol:         _ZN9rocsparseL19coomvn_atomic_loopsILj256ELj1EifdddEEvlNS_24const_host_device_scalarIT5_EEPKT1_S6_PKT2_PKT3_PT4_21rocsparse_index_base_b.kd
    .uniform_work_group_size: 1
    .uses_dynamic_stack: false
    .vgpr_count:     10
    .vgpr_spill_count: 0
    .wavefront_size: 32
  - .args:
      - .offset:         0
        .size:           8
        .value_kind:     by_value
      - .offset:         8
        .size:           8
        .value_kind:     by_value
      - .actual_access:  read_only
        .address_space:  global
        .offset:         16
        .size:           8
        .value_kind:     global_buffer
      - .actual_access:  read_only
        .address_space:  global
        .offset:         24
        .size:           8
        .value_kind:     global_buffer
      - .actual_access:  read_only
        .address_space:  global
        .offset:         32
        .size:           8
        .value_kind:     global_buffer
      - .actual_access:  read_only
        .address_space:  global
        .offset:         40
        .size:           8
        .value_kind:     global_buffer
      - .address_space:  global
        .offset:         48
        .size:           8
        .value_kind:     global_buffer
      - .offset:         56
        .size:           4
        .value_kind:     by_value
      - .offset:         60
        .size:           1
        .value_kind:     by_value
    .group_segment_fixed_size: 3072
    .kernarg_segment_align: 8
    .kernarg_segment_size: 64
    .language:       OpenCL C
    .language_version:
      - 2
      - 0
    .max_flat_workgroup_size: 256
    .name:           _ZN9rocsparseL19coomvn_atomic_loopsILj256ELj2EifdddEEvlNS_24const_host_device_scalarIT5_EEPKT1_S6_PKT2_PKT3_PT4_21rocsparse_index_base_b
    .private_segment_fixed_size: 0
    .sgpr_count:     28
    .sgpr_spill_count: 0
    .symbol:         _ZN9rocsparseL19coomvn_atomic_loopsILj256ELj2EifdddEEvlNS_24const_host_device_scalarIT5_EEPKT1_S6_PKT2_PKT3_PT4_21rocsparse_index_base_b.kd
    .uniform_work_group_size: 1
    .uses_dynamic_stack: false
    .vgpr_count:     22
    .vgpr_spill_count: 0
    .wavefront_size: 32
  - .args:
      - .offset:         0
        .size:           8
        .value_kind:     by_value
      - .offset:         8
        .size:           8
        .value_kind:     by_value
      - .offset:         16
        .size:           8
        .value_kind:     by_value
      - .actual_access:  read_only
        .address_space:  global
        .offset:         24
        .size:           8
        .value_kind:     global_buffer
      - .actual_access:  read_only
        .address_space:  global
        .offset:         32
        .size:           8
        .value_kind:     global_buffer
      - .actual_access:  read_only
        .address_space:  global
        .offset:         40
        .size:           8
        .value_kind:     global_buffer
      - .actual_access:  read_only
        .address_space:  global
        .offset:         48
        .size:           8
        .value_kind:     global_buffer
      - .address_space:  global
        .offset:         56
        .size:           8
        .value_kind:     global_buffer
      - .actual_access:  write_only
        .address_space:  global
        .offset:         64
        .size:           8
        .value_kind:     global_buffer
      - .actual_access:  write_only
        .address_space:  global
        .offset:         72
        .size:           8
        .value_kind:     global_buffer
      - .offset:         80
        .size:           4
        .value_kind:     by_value
      - .offset:         84
        .size:           1
        .value_kind:     by_value
    .group_segment_fixed_size: 4096
    .kernarg_segment_align: 8
    .kernarg_segment_size: 88
    .language:       OpenCL C
    .language_version:
      - 2
      - 0
    .max_flat_workgroup_size: 256
    .name:           _ZN9rocsparseL22coomvn_segmented_loopsILj256ElfdddEEvlT0_NS_24const_host_device_scalarIT4_EEPKS1_S6_PKT1_PKT2_PT3_PS1_PS3_21rocsparse_index_base_b
    .private_segment_fixed_size: 0
    .sgpr_count:     40
    .sgpr_spill_count: 0
    .symbol:         _ZN9rocsparseL22coomvn_segmented_loopsILj256ElfdddEEvlT0_NS_24const_host_device_scalarIT4_EEPKS1_S6_PKT1_PKT2_PT3_PS1_PS3_21rocsparse_index_base_b.kd
    .uniform_work_group_size: 1
    .uses_dynamic_stack: false
    .vgpr_count:     40
    .vgpr_spill_count: 0
    .wavefront_size: 32
  - .args:
      - .offset:         0
        .size:           4
        .value_kind:     by_value
      - .offset:         8
        .size:           8
        .value_kind:     by_value
      - .offset:         16
        .size:           8
        .value_kind:     by_value
      - .actual_access:  read_only
        .address_space:  global
        .offset:         24
        .size:           8
        .value_kind:     global_buffer
      - .actual_access:  read_only
        .address_space:  global
        .offset:         32
        .size:           8
        .value_kind:     global_buffer
      - .actual_access:  read_only
        .address_space:  global
        .offset:         40
        .size:           8
        .value_kind:     global_buffer
      - .actual_access:  read_only
        .address_space:  global
        .offset:         48
        .size:           8
        .value_kind:     global_buffer
      - .address_space:  global
        .offset:         56
        .size:           8
        .value_kind:     global_buffer
      - .offset:         64
        .size:           4
        .value_kind:     by_value
      - .offset:         68
        .size:           1
        .value_kind:     by_value
      - .offset:         72
        .size:           4
        .value_kind:     hidden_block_count_x
      - .offset:         76
        .size:           4
        .value_kind:     hidden_block_count_y
      - .offset:         80
        .size:           4
        .value_kind:     hidden_block_count_z
      - .offset:         84
        .size:           2
        .value_kind:     hidden_group_size_x
      - .offset:         86
        .size:           2
        .value_kind:     hidden_group_size_y
      - .offset:         88
        .size:           2
        .value_kind:     hidden_group_size_z
      - .offset:         90
        .size:           2
        .value_kind:     hidden_remainder_x
      - .offset:         92
        .size:           2
        .value_kind:     hidden_remainder_y
      - .offset:         94
        .size:           2
        .value_kind:     hidden_remainder_z
      - .offset:         112
        .size:           8
        .value_kind:     hidden_global_offset_x
      - .offset:         120
        .size:           8
        .value_kind:     hidden_global_offset_y
      - .offset:         128
        .size:           8
        .value_kind:     hidden_global_offset_z
      - .offset:         136
        .size:           2
        .value_kind:     hidden_grid_dims
    .group_segment_fixed_size: 0
    .kernarg_segment_align: 8
    .kernarg_segment_size: 328
    .language:       OpenCL C
    .language_version:
      - 2
      - 0
    .max_flat_workgroup_size: 1024
    .name:           _ZN9rocsparseL13coomvt_kernelILj1024ElfdddEEv20rocsparse_operation_lNS_24const_host_device_scalarIT4_EEPKT0_S7_PKT1_PKT2_PT3_21rocsparse_index_base_b
    .private_segment_fixed_size: 0
    .sgpr_count:     14
    .sgpr_spill_count: 0
    .symbol:         _ZN9rocsparseL13coomvt_kernelILj1024ElfdddEEv20rocsparse_operation_lNS_24const_host_device_scalarIT4_EEPKT0_S7_PKT1_PKT2_PT3_21rocsparse_index_base_b.kd
    .uniform_work_group_size: 1
    .uses_dynamic_stack: false
    .vgpr_count:     9
    .vgpr_spill_count: 0
    .wavefront_size: 32
  - .args:
      - .offset:         0
        .size:           8
        .value_kind:     by_value
      - .offset:         8
        .size:           8
        .value_kind:     by_value
      - .actual_access:  read_only
        .address_space:  global
        .offset:         16
        .size:           8
        .value_kind:     global_buffer
      - .actual_access:  read_only
        .address_space:  global
        .offset:         24
        .size:           8
        .value_kind:     global_buffer
      - .actual_access:  read_only
        .address_space:  global
        .offset:         32
        .size:           8
        .value_kind:     global_buffer
      - .actual_access:  read_only
        .address_space:  global
        .offset:         40
        .size:           8
        .value_kind:     global_buffer
      - .address_space:  global
        .offset:         48
        .size:           8
        .value_kind:     global_buffer
      - .offset:         56
        .size:           4
        .value_kind:     by_value
      - .offset:         60
        .size:           1
        .value_kind:     by_value
    .group_segment_fixed_size: 4096
    .kernarg_segment_align: 8
    .kernarg_segment_size: 64
    .language:       OpenCL C
    .language_version:
      - 2
      - 0
    .max_flat_workgroup_size: 256
    .name:           _ZN9rocsparseL19coomvn_atomic_loopsILj256ELj1ElfdddEEvlNS_24const_host_device_scalarIT5_EEPKT1_S6_PKT2_PKT3_PT4_21rocsparse_index_base_b
    .private_segment_fixed_size: 0
    .sgpr_count:     18
    .sgpr_spill_count: 0
    .symbol:         _ZN9rocsparseL19coomvn_atomic_loopsILj256ELj1ElfdddEEvlNS_24const_host_device_scalarIT5_EEPKT1_S6_PKT2_PKT3_PT4_21rocsparse_index_base_b.kd
    .uniform_work_group_size: 1
    .uses_dynamic_stack: false
    .vgpr_count:     12
    .vgpr_spill_count: 0
    .wavefront_size: 32
  - .args:
      - .offset:         0
        .size:           8
        .value_kind:     by_value
      - .offset:         8
        .size:           8
        .value_kind:     by_value
      - .actual_access:  read_only
        .address_space:  global
        .offset:         16
        .size:           8
        .value_kind:     global_buffer
      - .actual_access:  read_only
        .address_space:  global
        .offset:         24
        .size:           8
        .value_kind:     global_buffer
      - .actual_access:  read_only
        .address_space:  global
        .offset:         32
        .size:           8
        .value_kind:     global_buffer
      - .actual_access:  read_only
        .address_space:  global
        .offset:         40
        .size:           8
        .value_kind:     global_buffer
      - .address_space:  global
        .offset:         48
        .size:           8
        .value_kind:     global_buffer
      - .offset:         56
        .size:           4
        .value_kind:     by_value
      - .offset:         60
        .size:           1
        .value_kind:     by_value
    .group_segment_fixed_size: 4096
    .kernarg_segment_align: 8
    .kernarg_segment_size: 64
    .language:       OpenCL C
    .language_version:
      - 2
      - 0
    .max_flat_workgroup_size: 256
    .name:           _ZN9rocsparseL19coomvn_atomic_loopsILj256ELj2ElfdddEEvlNS_24const_host_device_scalarIT5_EEPKT1_S6_PKT2_PKT3_PT4_21rocsparse_index_base_b
    .private_segment_fixed_size: 0
    .sgpr_count:     28
    .sgpr_spill_count: 0
    .symbol:         _ZN9rocsparseL19coomvn_atomic_loopsILj256ELj2ElfdddEEvlNS_24const_host_device_scalarIT5_EEPKT1_S6_PKT2_PKT3_PT4_21rocsparse_index_base_b.kd
    .uniform_work_group_size: 1
    .uses_dynamic_stack: false
    .vgpr_count:     26
    .vgpr_spill_count: 0
    .wavefront_size: 32
  - .args:
      - .offset:         0
        .size:           8
        .value_kind:     by_value
      - .offset:         8
        .size:           4
        .value_kind:     by_value
      - .offset:         16
        .size:           16
        .value_kind:     by_value
      - .actual_access:  read_only
        .address_space:  global
        .offset:         32
        .size:           8
        .value_kind:     global_buffer
      - .actual_access:  read_only
        .address_space:  global
        .offset:         40
        .size:           8
        .value_kind:     global_buffer
      - .actual_access:  read_only
        .address_space:  global
        .offset:         48
        .size:           8
        .value_kind:     global_buffer
      - .actual_access:  read_only
        .address_space:  global
        .offset:         56
        .size:           8
        .value_kind:     global_buffer
      - .address_space:  global
        .offset:         64
        .size:           8
        .value_kind:     global_buffer
      - .actual_access:  write_only
        .address_space:  global
        .offset:         72
        .size:           8
        .value_kind:     global_buffer
      - .actual_access:  write_only
        .address_space:  global
        .offset:         80
        .size:           8
        .value_kind:     global_buffer
      - .offset:         88
        .size:           4
        .value_kind:     by_value
      - .offset:         92
        .size:           1
        .value_kind:     by_value
    .group_segment_fixed_size: 5120
    .kernarg_segment_align: 8
    .kernarg_segment_size: 96
    .language:       OpenCL C
    .language_version:
      - 2
      - 0
    .max_flat_workgroup_size: 256
    .name:           _ZN9rocsparseL22coomvn_segmented_loopsILj256Ei21rocsparse_complex_numIfES1_IdES3_S3_EEvlT0_NS_24const_host_device_scalarIT4_EEPKS4_S9_PKT1_PKT2_PT3_PS4_PS6_21rocsparse_index_base_b
    .private_segment_fixed_size: 0
    .sgpr_count:     32
    .sgpr_spill_count: 0
    .symbol:         _ZN9rocsparseL22coomvn_segmented_loopsILj256Ei21rocsparse_complex_numIfES1_IdES3_S3_EEvlT0_NS_24const_host_device_scalarIT4_EEPKS4_S9_PKT1_PKT2_PT3_PS4_PS6_21rocsparse_index_base_b.kd
    .uniform_work_group_size: 1
    .uses_dynamic_stack: false
    .vgpr_count:     46
    .vgpr_spill_count: 0
    .wavefront_size: 32
  - .args:
      - .offset:         0
        .size:           4
        .value_kind:     by_value
      - .offset:         8
        .size:           8
        .value_kind:     by_value
      - .offset:         16
        .size:           16
        .value_kind:     by_value
      - .actual_access:  read_only
        .address_space:  global
        .offset:         32
        .size:           8
        .value_kind:     global_buffer
      - .actual_access:  read_only
        .address_space:  global
        .offset:         40
        .size:           8
        .value_kind:     global_buffer
      - .actual_access:  read_only
        .address_space:  global
        .offset:         48
        .size:           8
        .value_kind:     global_buffer
      - .actual_access:  read_only
        .address_space:  global
        .offset:         56
        .size:           8
        .value_kind:     global_buffer
      - .address_space:  global
        .offset:         64
        .size:           8
        .value_kind:     global_buffer
      - .offset:         72
        .size:           4
        .value_kind:     by_value
      - .offset:         76
        .size:           1
        .value_kind:     by_value
      - .offset:         80
        .size:           4
        .value_kind:     hidden_block_count_x
      - .offset:         84
        .size:           4
        .value_kind:     hidden_block_count_y
      - .offset:         88
        .size:           4
        .value_kind:     hidden_block_count_z
      - .offset:         92
        .size:           2
        .value_kind:     hidden_group_size_x
      - .offset:         94
        .size:           2
        .value_kind:     hidden_group_size_y
      - .offset:         96
        .size:           2
        .value_kind:     hidden_group_size_z
      - .offset:         98
        .size:           2
        .value_kind:     hidden_remainder_x
      - .offset:         100
        .size:           2
        .value_kind:     hidden_remainder_y
      - .offset:         102
        .size:           2
        .value_kind:     hidden_remainder_z
      - .offset:         120
        .size:           8
        .value_kind:     hidden_global_offset_x
      - .offset:         128
        .size:           8
        .value_kind:     hidden_global_offset_y
      - .offset:         136
        .size:           8
        .value_kind:     hidden_global_offset_z
      - .offset:         144
        .size:           2
        .value_kind:     hidden_grid_dims
    .group_segment_fixed_size: 0
    .kernarg_segment_align: 8
    .kernarg_segment_size: 336
    .language:       OpenCL C
    .language_version:
      - 2
      - 0
    .max_flat_workgroup_size: 1024
    .name:           _ZN9rocsparseL13coomvt_kernelILj1024Ei21rocsparse_complex_numIfES1_IdES3_S3_EEv20rocsparse_operation_lNS_24const_host_device_scalarIT4_EEPKT0_SA_PKT1_PKT2_PT3_21rocsparse_index_base_b
    .private_segment_fixed_size: 0
    .sgpr_count:     22
    .sgpr_spill_count: 0
    .symbol:         _ZN9rocsparseL13coomvt_kernelILj1024Ei21rocsparse_complex_numIfES1_IdES3_S3_EEv20rocsparse_operation_lNS_24const_host_device_scalarIT4_EEPKT0_SA_PKT1_PKT2_PT3_21rocsparse_index_base_b.kd
    .uniform_work_group_size: 1
    .uses_dynamic_stack: false
    .vgpr_count:     15
    .vgpr_spill_count: 0
    .wavefront_size: 32
  - .args:
      - .offset:         0
        .size:           8
        .value_kind:     by_value
      - .offset:         8
        .size:           16
        .value_kind:     by_value
      - .actual_access:  read_only
        .address_space:  global
        .offset:         24
        .size:           8
        .value_kind:     global_buffer
      - .actual_access:  read_only
        .address_space:  global
        .offset:         32
        .size:           8
        .value_kind:     global_buffer
      - .actual_access:  read_only
        .address_space:  global
        .offset:         40
        .size:           8
        .value_kind:     global_buffer
      - .actual_access:  read_only
        .address_space:  global
        .offset:         48
        .size:           8
        .value_kind:     global_buffer
      - .address_space:  global
        .offset:         56
        .size:           8
        .value_kind:     global_buffer
      - .offset:         64
        .size:           4
        .value_kind:     by_value
      - .offset:         68
        .size:           1
        .value_kind:     by_value
    .group_segment_fixed_size: 5120
    .kernarg_segment_align: 8
    .kernarg_segment_size: 72
    .language:       OpenCL C
    .language_version:
      - 2
      - 0
    .max_flat_workgroup_size: 256
    .name:           _ZN9rocsparseL19coomvn_atomic_loopsILj256ELj1Ei21rocsparse_complex_numIfES1_IdES3_S3_EEvlNS_24const_host_device_scalarIT5_EEPKT1_S9_PKT2_PKT3_PT4_21rocsparse_index_base_b
    .private_segment_fixed_size: 0
    .sgpr_count:     22
    .sgpr_spill_count: 0
    .symbol:         _ZN9rocsparseL19coomvn_atomic_loopsILj256ELj1Ei21rocsparse_complex_numIfES1_IdES3_S3_EEvlNS_24const_host_device_scalarIT5_EEPKT1_S9_PKT2_PKT3_PT4_21rocsparse_index_base_b.kd
    .uniform_work_group_size: 1
    .uses_dynamic_stack: false
    .vgpr_count:     18
    .vgpr_spill_count: 0
    .wavefront_size: 32
  - .args:
      - .offset:         0
        .size:           8
        .value_kind:     by_value
      - .offset:         8
        .size:           16
        .value_kind:     by_value
      - .actual_access:  read_only
        .address_space:  global
        .offset:         24
        .size:           8
        .value_kind:     global_buffer
      - .actual_access:  read_only
        .address_space:  global
        .offset:         32
        .size:           8
        .value_kind:     global_buffer
      - .actual_access:  read_only
        .address_space:  global
        .offset:         40
        .size:           8
        .value_kind:     global_buffer
      - .actual_access:  read_only
        .address_space:  global
        .offset:         48
        .size:           8
        .value_kind:     global_buffer
      - .address_space:  global
        .offset:         56
        .size:           8
        .value_kind:     global_buffer
      - .offset:         64
        .size:           4
        .value_kind:     by_value
      - .offset:         68
        .size:           1
        .value_kind:     by_value
    .group_segment_fixed_size: 5120
    .kernarg_segment_align: 8
    .kernarg_segment_size: 72
    .language:       OpenCL C
    .language_version:
      - 2
      - 0
    .max_flat_workgroup_size: 256
    .name:           _ZN9rocsparseL19coomvn_atomic_loopsILj256ELj2Ei21rocsparse_complex_numIfES1_IdES3_S3_EEvlNS_24const_host_device_scalarIT5_EEPKT1_S9_PKT2_PKT3_PT4_21rocsparse_index_base_b
    .private_segment_fixed_size: 0
    .sgpr_count:     28
    .sgpr_spill_count: 0
    .symbol:         _ZN9rocsparseL19coomvn_atomic_loopsILj256ELj2Ei21rocsparse_complex_numIfES1_IdES3_S3_EEvlNS_24const_host_device_scalarIT5_EEPKT1_S9_PKT2_PKT3_PT4_21rocsparse_index_base_b.kd
    .uniform_work_group_size: 1
    .uses_dynamic_stack: false
    .vgpr_count:     34
    .vgpr_spill_count: 0
    .wavefront_size: 32
  - .args:
      - .offset:         0
        .size:           8
        .value_kind:     by_value
      - .offset:         8
        .size:           8
        .value_kind:     by_value
      - .offset:         16
        .size:           16
        .value_kind:     by_value
      - .actual_access:  read_only
        .address_space:  global
        .offset:         32
        .size:           8
        .value_kind:     global_buffer
      - .actual_access:  read_only
        .address_space:  global
        .offset:         40
        .size:           8
        .value_kind:     global_buffer
      - .actual_access:  read_only
        .address_space:  global
        .offset:         48
        .size:           8
        .value_kind:     global_buffer
      - .actual_access:  read_only
        .address_space:  global
        .offset:         56
        .size:           8
        .value_kind:     global_buffer
      - .address_space:  global
        .offset:         64
        .size:           8
        .value_kind:     global_buffer
      - .actual_access:  write_only
        .address_space:  global
        .offset:         72
        .size:           8
        .value_kind:     global_buffer
      - .actual_access:  write_only
        .address_space:  global
        .offset:         80
        .size:           8
        .value_kind:     global_buffer
      - .offset:         88
        .size:           4
        .value_kind:     by_value
      - .offset:         92
        .size:           1
        .value_kind:     by_value
    .group_segment_fixed_size: 6144
    .kernarg_segment_align: 8
    .kernarg_segment_size: 96
    .language:       OpenCL C
    .language_version:
      - 2
      - 0
    .max_flat_workgroup_size: 256
    .name:           _ZN9rocsparseL22coomvn_segmented_loopsILj256El21rocsparse_complex_numIfES1_IdES3_S3_EEvlT0_NS_24const_host_device_scalarIT4_EEPKS4_S9_PKT1_PKT2_PT3_PS4_PS6_21rocsparse_index_base_b
    .private_segment_fixed_size: 0
    .sgpr_count:     38
    .sgpr_spill_count: 0
    .symbol:         _ZN9rocsparseL22coomvn_segmented_loopsILj256El21rocsparse_complex_numIfES1_IdES3_S3_EEvlT0_NS_24const_host_device_scalarIT4_EEPKS4_S9_PKT1_PKT2_PT3_PS4_PS6_21rocsparse_index_base_b.kd
    .uniform_work_group_size: 1
    .uses_dynamic_stack: false
    .vgpr_count:     48
    .vgpr_spill_count: 0
    .wavefront_size: 32
  - .args:
      - .offset:         0
        .size:           4
        .value_kind:     by_value
      - .offset:         8
        .size:           8
        .value_kind:     by_value
      - .offset:         16
        .size:           16
        .value_kind:     by_value
      - .actual_access:  read_only
        .address_space:  global
        .offset:         32
        .size:           8
        .value_kind:     global_buffer
      - .actual_access:  read_only
        .address_space:  global
        .offset:         40
        .size:           8
        .value_kind:     global_buffer
      - .actual_access:  read_only
        .address_space:  global
        .offset:         48
        .size:           8
        .value_kind:     global_buffer
      - .actual_access:  read_only
        .address_space:  global
        .offset:         56
        .size:           8
        .value_kind:     global_buffer
      - .address_space:  global
        .offset:         64
        .size:           8
        .value_kind:     global_buffer
      - .offset:         72
        .size:           4
        .value_kind:     by_value
      - .offset:         76
        .size:           1
        .value_kind:     by_value
      - .offset:         80
        .size:           4
        .value_kind:     hidden_block_count_x
      - .offset:         84
        .size:           4
        .value_kind:     hidden_block_count_y
      - .offset:         88
        .size:           4
        .value_kind:     hidden_block_count_z
      - .offset:         92
        .size:           2
        .value_kind:     hidden_group_size_x
      - .offset:         94
        .size:           2
        .value_kind:     hidden_group_size_y
      - .offset:         96
        .size:           2
        .value_kind:     hidden_group_size_z
      - .offset:         98
        .size:           2
        .value_kind:     hidden_remainder_x
      - .offset:         100
        .size:           2
        .value_kind:     hidden_remainder_y
      - .offset:         102
        .size:           2
        .value_kind:     hidden_remainder_z
      - .offset:         120
        .size:           8
        .value_kind:     hidden_global_offset_x
      - .offset:         128
        .size:           8
        .value_kind:     hidden_global_offset_y
      - .offset:         136
        .size:           8
        .value_kind:     hidden_global_offset_z
      - .offset:         144
        .size:           2
        .value_kind:     hidden_grid_dims
    .group_segment_fixed_size: 0
    .kernarg_segment_align: 8
    .kernarg_segment_size: 336
    .language:       OpenCL C
    .language_version:
      - 2
      - 0
    .max_flat_workgroup_size: 1024
    .name:           _ZN9rocsparseL13coomvt_kernelILj1024El21rocsparse_complex_numIfES1_IdES3_S3_EEv20rocsparse_operation_lNS_24const_host_device_scalarIT4_EEPKT0_SA_PKT1_PKT2_PT3_21rocsparse_index_base_b
    .private_segment_fixed_size: 0
    .sgpr_count:     22
    .sgpr_spill_count: 0
    .symbol:         _ZN9rocsparseL13coomvt_kernelILj1024El21rocsparse_complex_numIfES1_IdES3_S3_EEv20rocsparse_operation_lNS_24const_host_device_scalarIT4_EEPKT0_SA_PKT1_PKT2_PT3_21rocsparse_index_base_b.kd
    .uniform_work_group_size: 1
    .uses_dynamic_stack: false
    .vgpr_count:     16
    .vgpr_spill_count: 0
    .wavefront_size: 32
  - .args:
      - .offset:         0
        .size:           8
        .value_kind:     by_value
      - .offset:         8
        .size:           16
        .value_kind:     by_value
      - .actual_access:  read_only
        .address_space:  global
        .offset:         24
        .size:           8
        .value_kind:     global_buffer
      - .actual_access:  read_only
        .address_space:  global
        .offset:         32
        .size:           8
        .value_kind:     global_buffer
      - .actual_access:  read_only
        .address_space:  global
        .offset:         40
        .size:           8
        .value_kind:     global_buffer
      - .actual_access:  read_only
        .address_space:  global
        .offset:         48
        .size:           8
        .value_kind:     global_buffer
      - .address_space:  global
        .offset:         56
        .size:           8
        .value_kind:     global_buffer
      - .offset:         64
        .size:           4
        .value_kind:     by_value
      - .offset:         68
        .size:           1
        .value_kind:     by_value
    .group_segment_fixed_size: 6144
    .kernarg_segment_align: 8
    .kernarg_segment_size: 72
    .language:       OpenCL C
    .language_version:
      - 2
      - 0
    .max_flat_workgroup_size: 256
    .name:           _ZN9rocsparseL19coomvn_atomic_loopsILj256ELj1El21rocsparse_complex_numIfES1_IdES3_S3_EEvlNS_24const_host_device_scalarIT5_EEPKT1_S9_PKT2_PKT3_PT4_21rocsparse_index_base_b
    .private_segment_fixed_size: 0
    .sgpr_count:     22
    .sgpr_spill_count: 0
    .symbol:         _ZN9rocsparseL19coomvn_atomic_loopsILj256ELj1El21rocsparse_complex_numIfES1_IdES3_S3_EEvlNS_24const_host_device_scalarIT5_EEPKT1_S9_PKT2_PKT3_PT4_21rocsparse_index_base_b.kd
    .uniform_work_group_size: 1
    .uses_dynamic_stack: false
    .vgpr_count:     20
    .vgpr_spill_count: 0
    .wavefront_size: 32
  - .args:
      - .offset:         0
        .size:           8
        .value_kind:     by_value
      - .offset:         8
        .size:           16
        .value_kind:     by_value
      - .actual_access:  read_only
        .address_space:  global
        .offset:         24
        .size:           8
        .value_kind:     global_buffer
      - .actual_access:  read_only
        .address_space:  global
        .offset:         32
        .size:           8
        .value_kind:     global_buffer
      - .actual_access:  read_only
        .address_space:  global
        .offset:         40
        .size:           8
        .value_kind:     global_buffer
      - .actual_access:  read_only
        .address_space:  global
        .offset:         48
        .size:           8
        .value_kind:     global_buffer
      - .address_space:  global
        .offset:         56
        .size:           8
        .value_kind:     global_buffer
      - .offset:         64
        .size:           4
        .value_kind:     by_value
      - .offset:         68
        .size:           1
        .value_kind:     by_value
    .group_segment_fixed_size: 6144
    .kernarg_segment_align: 8
    .kernarg_segment_size: 72
    .language:       OpenCL C
    .language_version:
      - 2
      - 0
    .max_flat_workgroup_size: 256
    .name:           _ZN9rocsparseL19coomvn_atomic_loopsILj256ELj2El21rocsparse_complex_numIfES1_IdES3_S3_EEvlNS_24const_host_device_scalarIT5_EEPKT1_S9_PKT2_PKT3_PT4_21rocsparse_index_base_b
    .private_segment_fixed_size: 0
    .sgpr_count:     28
    .sgpr_spill_count: 0
    .symbol:         _ZN9rocsparseL19coomvn_atomic_loopsILj256ELj2El21rocsparse_complex_numIfES1_IdES3_S3_EEvlNS_24const_host_device_scalarIT5_EEPKT1_S9_PKT2_PKT3_PT4_21rocsparse_index_base_b.kd
    .uniform_work_group_size: 1
    .uses_dynamic_stack: false
    .vgpr_count:     31
    .vgpr_spill_count: 0
    .wavefront_size: 32
amdhsa.target:   amdgcn-amd-amdhsa--gfx1250
amdhsa.version:
  - 1
  - 2
...

	.end_amdgpu_metadata
